;; amdgpu-corpus repo=ROCm/aiter kind=harvested arch=n/a opt=n/a

/root/src/amdgpu-assembly/repos/ROCm__aiter/hsa/gfx950/f4gemm/f4gemm_bf16_per1x32Fp4_BpreShuffle_32x512.co:	file format elf64-amdgpu

Disassembly of section .text:

0000000000002c00 <_ZN5aiter41f4gemm_bf16_per1x32Fp4_BpreShuffle_32x512E>:
	s_and_b32 s1, s1, 0xffff                                   // 000000002C00: 8601FF01 0000FFFF
	s_load_dwordx2 s[4:5], s[0:1], 0x0                         // 000000002C08: C0060100 00000000
	s_load_dwordx2 s[8:9], s[0:1], 0x10                        // 000000002C10: C0060200 00000010
	s_load_dwordx2 s[12:13], s[0:1], 0x20                      // 000000002C18: C0060300 00000020
	s_load_dwordx2 s[16:17], s[0:1], 0x30                      // 000000002C20: C0060400 00000030
	s_load_dword s41, s[0:1], 0x40                             // 000000002C28: C0020A40 00000040
	s_load_dword s42, s[0:1], 0x50                             // 000000002C30: C0020A80 00000050
	s_load_dword s36, s[0:1], 0x80                             // 000000002C38: C0020900 00000080
	s_load_dword s37, s[0:1], 0xa0                             // 000000002C40: C0020940 000000A0
	s_load_dword s38, s[0:1], 0xc0                             // 000000002C48: C0020980 000000C0
	s_load_dword s43, s[0:1], 0xe0                             // 000000002C50: C0020AC0 000000E0
	s_load_dword s44, s[0:1], 0xf0                             // 000000002C58: C0020B00 000000F0
	s_load_dword s45, s[0:1], 0x100                            // 000000002C60: C0020B40 00000100
	s_load_dwordx2 s[20:21], s[0:1], 0x110                     // 000000002C68: C0060500 00000110
	s_load_dwordx2 s[24:25], s[0:1], 0x120                     // 000000002C70: C0060600 00000120
	s_load_dword s39, s[0:1], 0x130                            // 000000002C78: C00209C0 00000130
	s_load_dword s40, s[0:1], 0x150                            // 000000002C80: C0020A00 00000150
	v_lshrrev_b32_e32 v1, 10, v0                               // 000000002C88: 2002008A
	v_lshrrev_b32_e32 v2, 10, v1                               // 000000002C8C: 2004028A
	v_and_b32_e32 v2, 0x3ff, v2                                // 000000002C90: 260404FF 000003FF
	v_and_b32_e32 v1, 0x3ff, v1                                // 000000002C98: 260202FF 000003FF
	v_and_b32_e32 v0, 0x3ff, v0                                // 000000002CA0: 260000FF 000003FF
	v_lshrrev_b32_e32 v3, 6, v0                                // 000000002CA8: 20060086
	v_and_b32_e32 v0, 63, v0                                   // 000000002CAC: 260000BF
	s_mov_b32 s47, s2                                          // 000000002CB0: BEAF0002
	s_mov_b32 s48, s3                                          // 000000002CB4: BEB00003
	v_readfirstlane_b32 s46, v3                                // 000000002CB8: 7E5C0503
	s_waitcnt lgkmcnt(0)                                       // 000000002CBC: BF8CC07F
	s_add_u32 s51, s44, 0x1ff                                  // 000000002CC0: 8033FF2C 000001FF
	s_lshr_b32 s50, s51, 9                                     // 000000002CC8: 8F328933
	s_mul_i32 s49, s50, s48                                    // 000000002CCC: 92313032
	s_add_i32 s49, s49, s47                                    // 000000002CD0: 81312F31
	s_add_u32 s51, s43, 31                                     // 000000002CD4: 80339F2B
	s_lshr_b32 s62, s51, 5                                     // 000000002CD8: 8F3E8533
	s_lshl_b32 s62, s62, 5                                     // 000000002CDC: 8E3E853E
	s_mov_b32 s47, 0                                           // 000000002CE0: BEAF0080

0000000000002ce4 <label_0039>:
	s_cmp_lt_i32 s49, s62                                      // 000000002CE4: BF043E31
	s_cbranch_scc1 label_003E                                  // 000000002CE8: BF850003
	s_sub_i32 s49, s49, s62                                    // 000000002CEC: 81B13E31
	s_add_i32 s47, s47, 32                                     // 000000002CF0: 812FA02F
	s_branch label_0039                                        // 000000002CF4: BF82FFFB

0000000000002cf8 <label_003E>:
	s_sub_i32 s50, s50, s47                                    // 000000002CF8: 81B22F32
	s_cmp_lt_i32 s50, 32                                       // 000000002CFC: BF04A032
	s_cbranch_scc1 label_0044                                  // 000000002D00: BF850003
	s_lshr_b32 s48, s49, 5                                     // 000000002D04: 8F308531
	s_and_b32 s62, s49, 31                                     // 000000002D08: 863E9F31
	s_branch label_0064                                        // 000000002D0C: BF820020

0000000000002d10 <label_0044>:
	v_cvt_f32_u32_e32 v4, s50                                  // 000000002D10: 7E080C32
	s_sub_i32 s48, 0, s50                                      // 000000002D14: 81B03280
	v_rcp_iflag_f32_e32 v4, v4                                 // 000000002D18: 7E084704
	s_nop 0                                                    // 000000002D1C: BF800000
	v_mul_f32_e32 v4, 0x4f7ffffe, v4                           // 000000002D20: 0A0808FF 4F7FFFFE
	v_cvt_u32_f32_e32 v4, v4                                   // 000000002D28: 7E080F04
	v_mul_lo_u32 v5, s48, v4                                   // 000000002D2C: D2850005 00020830
	v_mul_hi_u32 v5, v4, v5                                    // 000000002D34: D2860005 00020B04
	v_add_u32_e32 v4, v4, v5                                   // 000000002D3C: 68080B04
	v_mul_hi_u32 v4, s49, v4                                   // 000000002D40: D2860004 00020831
	v_mul_lo_u32 v5, v4, s50                                   // 000000002D48: D2850005 00006504
	v_sub_u32_e32 v7, s49, v5                                  // 000000002D50: 6A0E0A31
	v_add_u32_e32 v6, 1, v4                                    // 000000002D54: 680C0881
	v_cmp_le_u32_e32 vcc, s50, v7                              // 000000002D58: 7D960E32
	v_subrev_u32_e32 v5, s50, v7                               // 000000002D5C: 6C0A0E32
	s_nop 0                                                    // 000000002D60: BF800000
	v_cndmask_b32_e32 v4, v4, v6, vcc                          // 000000002D64: 00080D04
	v_cndmask_b32_e32 v7, v7, v5, vcc                          // 000000002D68: 000E0B07
	v_add_u32_e32 v5, 1, v4                                    // 000000002D6C: 680A0881
	v_cmp_le_u32_e32 vcc, s50, v7                              // 000000002D70: 7D960E32
	s_nop 1                                                    // 000000002D74: BF800001
	v_cndmask_b32_e32 v7, v4, v5, vcc                          // 000000002D78: 000E0B04
	s_nop 3                                                    // 000000002D7C: BF800003
	v_readfirstlane_b32 s48, v7                                // 000000002D80: 7E600507
	s_nop 3                                                    // 000000002D84: BF800003
	s_mul_i32 s62, s50, s48                                    // 000000002D88: 923E3032
	s_sub_i32 s62, s49, s62                                    // 000000002D8C: 81BE3E31

0000000000002d90 <label_0064>:
	s_add_i32 s47, s62, s47                                    // 000000002D90: 812F2F3E
	s_lshr_b32 s37, s37, 1                                     // 000000002D94: 8F258125
	s_mul_i32 s62, s48, 32                                     // 000000002D98: 923EA030
	s_mul_hi_u32 s63, s37, s62                                 // 000000002D9C: 963F3E25
	s_add_u32 s13, s13, s63                                    // 000000002DA0: 800D3F0D
	s_mul_i32 s63, s37, s62                                    // 000000002DA4: 923F3E25
	s_add_u32 s12, s12, s63                                    // 000000002DA8: 800C3F0C
	s_addc_u32 s13, s13, 0                                     // 000000002DAC: 820D800D
	s_sub_i32 s63, s43, s62                                    // 000000002DB0: 81BF3E2B
	s_cmp_lt_u32 s63, 32                                       // 000000002DB4: BF0AA03F
	s_cselect_b32 s62, s63, 32                                 // 000000002DB8: 853EA03F
	s_mul_i32 s14, s37, s62                                    // 000000002DBC: 920E3E25
	s_mov_b32 s15, 0x20000                                     // 000000002DC0: BE8F00FF 00020000
	v_lshrrev_b32_e32 v4, 3, v0                                // 000000002DC8: 20080083
	v_lshrrev_b32_e32 v5, 2, v4                                // 000000002DCC: 200A0882
	v_lshlrev_b32_e32 v5, 4, v5                                // 000000002DD0: 240A0A84
	v_and_b32_e32 v4, 3, v4                                    // 000000002DD4: 26080883
	v_lshrrev_b32_e32 v6, 1, v4                                // 000000002DD8: 200C0881
	v_lshlrev_b32_e32 v6, 2, v6                                // 000000002DDC: 240C0C82
	v_add_u32_e32 v5, v5, v6                                   // 000000002DE0: 680A0D05
	v_and_b32_e32 v4, 1, v4                                    // 000000002DE4: 26080881
	v_add_u32_e32 v5, v5, v4                                   // 000000002DE8: 680A0905
	v_mul_lo_u32 v144, s37, v5                                 // 000000002DEC: D2850090 00020A25
	v_and_b32_e32 v4, 7, v0                                    // 000000002DF4: 26080087
	v_lshlrev_b32_e32 v4, 4, v4                                // 000000002DF8: 24080884
	v_add_u32_e32 v144, v4, v144                               // 000000002DFC: 69212104
	s_lshr_b32 s62, s46, 1                                     // 000000002E00: 8F3E812E
	s_mul_i32 s62, s62, 8                                      // 000000002E04: 923E883E
	s_and_b32 s63, s46, 1                                      // 000000002E08: 863F812E
	s_mul_i32 s63, s63, 2                                      // 000000002E0C: 923F823F
	s_add_u32 s62, s62, s63                                    // 000000002E10: 803E3F3E
	s_mul_i32 s62, s37, s62                                    // 000000002E14: 923E3E25
	v_add_u32_e32 v144, s62, v144                              // 000000002E18: 6921203E
	s_mul_i32 s64, 0x420, s46                                  // 000000002E1C: 92402EFF 00000420
	s_add_u32 s64, 0x1000, s64                                 // 000000002E24: 804040FF 00001000
	v_and_b32_e32 v4, 15, v0                                   // 000000002E2C: 2608008F
	v_lshrrev_b32_e32 v5, 3, v4                                // 000000002E30: 200A0883
	v_mul_i32_i24_e32 v5, 2, v5                                // 000000002E34: 0C0A0A82
	v_and_b32_e32 v4, 3, v0                                    // 000000002E38: 26080083
	v_lshrrev_b32_e32 v6, 1, v4                                // 000000002E3C: 200C0881
	v_add_u32_e32 v4, v5, v6                                   // 000000002E40: 68080D05
	v_mul_i32_i24_e32 v145, 0x420, v4                          // 000000002E44: 0D2208FF 00000420
	v_and_b32_e32 v4, 7, v0                                    // 000000002E4C: 26080087
	v_lshrrev_b32_e32 v5, 2, v4                                // 000000002E50: 200A0882
	v_mul_i32_i24_e32 v5, 0x100, v5                            // 000000002E54: 0C0A0AFF 00000100
	v_add_u32_e32 v145, v5, v145                               // 000000002E5C: 69232305
	v_and_b32_e32 v4, 1, v0                                    // 000000002E60: 26080081
	v_mul_i32_i24_e32 v6, 0x80, v4                             // 000000002E64: 0C0C08FF 00000080
	v_add_u32_e32 v145, v6, v145                               // 000000002E6C: 69232306
	v_lshrrev_b32_e32 v4, 4, v0                                // 000000002E70: 20080084
	v_mul_i32_i24_e32 v4, 16, v4                               // 000000002E74: 0C080890
	v_add_u32_e32 v145, v4, v145                               // 000000002E78: 69232304
	v_add_u32_e32 v145, 0x1000, v145                           // 000000002E7C: 692322FF 00001000
	v_add_u32_e32 v146, 0x1080, v145                           // 000000002E84: 692522FF 00001080
	v_add_u32_e32 v147, 0x1080, v146                           // 000000002E8C: 692724FF 00001080
	v_add_u32_e32 v148, 0x1080, v147                           // 000000002E94: 692926FF 00001080
	s_mul_i32 s62, s48, 32                                     // 000000002E9C: 923EA030
	s_mul_hi_u32 s63, s39, s62                                 // 000000002EA0: 963F3E27
	s_add_u32 s21, s21, s63                                    // 000000002EA4: 80153F15
	s_mul_i32 s63, s39, s62                                    // 000000002EA8: 923F3E27
	s_add_u32 s20, s20, s63                                    // 000000002EAC: 80143F14
	s_addc_u32 s21, s21, 0                                     // 000000002EB0: 82158015
	s_add_u32 s63, s43, 31                                     // 000000002EB4: 803F9F2B
	s_lshr_b32 s63, s63, 5                                     // 000000002EB8: 8F3F853F
	s_lshl_b32 s63, s63, 5                                     // 000000002EBC: 8E3F853F
	s_sub_i32 s63, s63, s62                                    // 000000002EC0: 81BF3E3F
	s_cmp_lt_u32 s63, 32                                       // 000000002EC4: BF0AA03F
	s_cselect_b32 s62, s63, 32                                 // 000000002EC8: 853EA03F
	s_mul_i32 s22, s39, s62                                    // 000000002ECC: 92163E27
	s_mov_b32 s23, 0x20000                                     // 000000002ED0: BE9700FF 00020000
	v_lshlrev_b32_e32 v149, 2, v0                              // 000000002ED8: 252A0082
	s_mul_i32 s63, s46, 32                                     // 000000002EDC: 923FA02E
	s_mul_i32 s63, s63, s39                                    // 000000002EE0: 923F273F
	v_add_u32_e32 v149, s63, v149                              // 000000002EE4: 692B2A3F
	s_mul_i32 s65, s46, 0x100                                  // 000000002EE8: 9241FF2E 00000100
	s_add_i32 s65, s65, 0                                      // 000000002EF0: 81418041
	v_lshlrev_b32_e32 v150, 2, v0                              // 000000002EF4: 252C0082
	v_add_u32_e32 v150, 0, v150                                // 000000002EF8: 692D2C80
	s_lshr_b32 s38, s38, 1                                     // 000000002EFC: 8F268126
	s_mul_i32 s62, s47, 0x200                                  // 000000002F00: 923EFF2F 00000200
	s_mul_hi_u32 s63, s38, s62                                 // 000000002F08: 963F3E26
	s_add_u32 s17, s17, s63                                    // 000000002F0C: 80113F11
	s_mul_i32 s63, s38, s62                                    // 000000002F10: 923F3E26
	s_add_u32 s16, s16, s63                                    // 000000002F14: 80103F10
	s_addc_u32 s17, s17, 0                                     // 000000002F18: 82118011
	s_sub_i32 s63, s44, s62                                    // 000000002F1C: 81BF3E2C
	s_cmp_lt_u32 s63, 0x200                                    // 000000002F20: BF0AFF3F 00000200
	s_cselect_b32 s62, s63, 0x200                              // 000000002F28: 853EFF3F 00000200
	s_mul_i32 s18, s38, s62                                    // 000000002F30: 92123E26
	s_mov_b32 s19, 0x20000                                     // 000000002F34: BE9300FF 00020000
	v_lshlrev_b32_e32 v151, 4, v0                              // 000000002F3C: 252E0084
	s_mul_i32 s63, s46, 0x80                                   // 000000002F40: 923FFF2E 00000080
	s_mul_i32 s62, s63, s38                                    // 000000002F48: 923E263F
	v_add_u32_e32 v151, s62, v151                              // 000000002F4C: 692F2E3E
	s_mul_i32 s62, 16, s38                                     // 000000002F50: 923E2690
	v_add_u32_e32 v152, s62, v151                              // 000000002F54: 69312E3E
	v_add_u32_e32 v153, s62, v152                              // 000000002F58: 6933303E
	v_add_u32_e32 v154, s62, v153                              // 000000002F5C: 6935323E
	v_add_u32_e32 v155, s62, v154                              // 000000002F60: 6937343E
	v_add_u32_e32 v156, s62, v155                              // 000000002F64: 6939363E
	v_add_u32_e32 v157, s62, v156                              // 000000002F68: 693B383E
	v_add_u32_e32 v158, s62, v157                              // 000000002F6C: 693D3A3E
	s_mul_i32 s62, s47, 0x200                                  // 000000002F70: 923EFF2F 00000200
	s_mul_hi_u32 s63, s40, s62                                 // 000000002F78: 963F3E28
	s_add_u32 s25, s25, s63                                    // 000000002F7C: 80193F19
	s_mul_i32 s63, s40, s62                                    // 000000002F80: 923F3E28
	s_add_u32 s24, s24, s63                                    // 000000002F84: 80183F18
	s_addc_u32 s25, s25, 0                                     // 000000002F88: 82198019
	s_sub_i32 s63, s44, s62                                    // 000000002F8C: 81BF3E2C
	s_cmp_lt_u32 s63, 0x200                                    // 000000002F90: BF0AFF3F 00000200
	s_cselect_b32 s62, s63, 0x200                              // 000000002F98: 853EFF3F 00000200
	s_mul_i32 s26, s40, s62                                    // 000000002FA0: 921A3E28
	s_mov_b32 s27, 0x20000                                     // 000000002FA4: BE9B00FF 00020000
	v_lshlrev_b32_e32 v159, 2, v0                              // 000000002FAC: 253E0082
	s_mul_i32 s63, s46, 0x80                                   // 000000002FB0: 923FFF2E 00000080
	s_mul_i32 s63, s63, s40                                    // 000000002FB8: 923F283F
	v_add_u32_e32 v159, s63, v159                              // 000000002FBC: 693F3E3F
	s_mul_i32 s62, 32, s40                                     // 000000002FC0: 923E28A0
	v_add_u32_e32 v160, s62, v159                              // 000000002FC4: 69413E3E
	v_add_u32_e32 v161, s62, v160                              // 000000002FC8: 6943403E
	v_add_u32_e32 v162, s62, v161                              // 000000002FCC: 6945423E
	s_mov_b32 s66, 0x80                                        // 000000002FD0: BEC200FF 00000080
	s_mov_b32 s67, 0x800                                       // 000000002FD8: BEC300FF 00000800
	s_mov_b32 s68, 0x100                                       // 000000002FE0: BEC400FF 00000100
	s_mov_b32 s69, 0x100                                       // 000000002FE8: BEC500FF 00000100
	s_mov_b32 s60, 0                                           // 000000002FF0: BEBC0080
	s_mov_b32 s61, s45                                         // 000000002FF4: BEBD002D
	s_add_u32 m0, 0, s65                                       // 000000002FF8: 807C4180
	buffer_load_dword v149, s[20:23], 0 offen lds              // 000000002FFC: E0511000 80050095
	v_accvgpr_write_b32 a0, 0                                  // 000000003004: D3D94000 18000080
	v_accvgpr_write_b32 a1, 0                                  // 00000000300C: D3D94001 18000080
	v_accvgpr_write_b32 a2, 0                                  // 000000003014: D3D94002 18000080
	v_accvgpr_write_b32 a3, 0                                  // 00000000301C: D3D94003 18000080
	v_accvgpr_write_b32 a4, 0                                  // 000000003024: D3D94004 18000080
	v_accvgpr_write_b32 a5, 0                                  // 00000000302C: D3D94005 18000080
	s_add_u32 m0, 0, s64                                       // 000000003034: 807C4080
	buffer_load_dwordx4 v144, s[12:15], 0 offen lds            // 000000003038: E05D1000 80030090
	v_accvgpr_write_b32 a6, 0                                  // 000000003040: D3D94006 18000080
	v_accvgpr_write_b32 a7, 0                                  // 000000003048: D3D94007 18000080
	v_accvgpr_write_b32 a8, 0                                  // 000000003050: D3D94008 18000080
	v_accvgpr_write_b32 a9, 0                                  // 000000003058: D3D94009 18000080
	v_accvgpr_write_b32 a10, 0                                 // 000000003060: D3D9400A 18000080
	v_accvgpr_write_b32 a11, 0                                 // 000000003068: D3D9400B 18000080
	s_add_u32 s62, 0x100, s60                                  // 000000003070: 803E3CFF 00000100
	s_cmp_lt_u32 s62, s61                                      // 000000003078: BF0A3D3E
	s_cselect_b32 s66, s66, 0                                  // 00000000307C: 85428042
	s_cselect_b32 s68, s68, 0                                  // 000000003080: 85448044
	s_add_u32 s12, s12, s66                                    // 000000003084: 800C420C
	s_addc_u32 s13, 0, s13                                     // 000000003088: 820D0D80
	s_sub_u32 s14, s14, s66                                    // 00000000308C: 808E420E
	s_add_u32 s20, s20, s68                                    // 000000003090: 80144414
	s_addc_u32 s21, 0, s21                                     // 000000003094: 82151580
	s_sub_u32 s22, s22, s68                                    // 000000003098: 80964416
	s_add_u32 m0, 0x400, s65                                   // 00000000309C: 807C41FF 00000400
	buffer_load_dword v149, s[20:23], 0 offen lds              // 0000000030A4: E0511000 80050095
	v_accvgpr_write_b32 a12, 0                                 // 0000000030AC: D3D9400C 18000080
	v_accvgpr_write_b32 a13, 0                                 // 0000000030B4: D3D9400D 18000080
	v_accvgpr_write_b32 a14, 0                                 // 0000000030BC: D3D9400E 18000080
	v_accvgpr_write_b32 a15, 0                                 // 0000000030C4: D3D9400F 18000080
	v_accvgpr_write_b32 a16, 0                                 // 0000000030CC: D3D94010 18000080
	v_accvgpr_write_b32 a17, 0                                 // 0000000030D4: D3D94011 18000080
	s_add_u32 m0, 0x1080, s64                                  // 0000000030DC: 807C40FF 00001080
	buffer_load_dwordx4 v144, s[12:15], 0 offen lds            // 0000000030E4: E05D1000 80030090
	v_accvgpr_write_b32 a18, 0                                 // 0000000030EC: D3D94012 18000080
	v_accvgpr_write_b32 a19, 0                                 // 0000000030F4: D3D94013 18000080
	v_accvgpr_write_b32 a20, 0                                 // 0000000030FC: D3D94014 18000080
	v_accvgpr_write_b32 a21, 0                                 // 000000003104: D3D94015 18000080
	v_accvgpr_write_b32 a22, 0                                 // 00000000310C: D3D94016 18000080
	v_accvgpr_write_b32 a23, 0                                 // 000000003114: D3D94017 18000080
	buffer_load_dwordx4 v[72:75], v151, s[16:19], 0 offen      // 00000000311C: E05C1000 80044897
	v_accvgpr_write_b32 a24, 0                                 // 000000003124: D3D94018 18000080
	v_accvgpr_write_b32 a25, 0                                 // 00000000312C: D3D94019 18000080
	v_accvgpr_write_b32 a26, 0                                 // 000000003134: D3D9401A 18000080
	v_accvgpr_write_b32 a27, 0                                 // 00000000313C: D3D9401B 18000080
	v_accvgpr_write_b32 a28, 0                                 // 000000003144: D3D9401C 18000080
	v_accvgpr_write_b32 a29, 0                                 // 00000000314C: D3D9401D 18000080
	buffer_load_dwordx4 v[76:79], v152, s[16:19], 0 offen      // 000000003154: E05C1000 80044C98
	v_accvgpr_write_b32 a30, 0                                 // 00000000315C: D3D9401E 18000080
	v_accvgpr_write_b32 a31, 0                                 // 000000003164: D3D9401F 18000080
	v_accvgpr_write_b32 a32, 0                                 // 00000000316C: D3D94020 18000080
	v_accvgpr_write_b32 a33, 0                                 // 000000003174: D3D94021 18000080
	v_accvgpr_write_b32 a34, 0                                 // 00000000317C: D3D94022 18000080
	v_accvgpr_write_b32 a35, 0                                 // 000000003184: D3D94023 18000080
	buffer_load_dwordx4 v[80:83], v151, s[16:19], 0 offen offset:1024// 00000000318C: E05C1400 80045097
	v_accvgpr_write_b32 a36, 0                                 // 000000003194: D3D94024 18000080
	v_accvgpr_write_b32 a37, 0                                 // 00000000319C: D3D94025 18000080
	v_accvgpr_write_b32 a38, 0                                 // 0000000031A4: D3D94026 18000080
	v_accvgpr_write_b32 a39, 0                                 // 0000000031AC: D3D94027 18000080
	v_accvgpr_write_b32 a40, 0                                 // 0000000031B4: D3D94028 18000080
	v_accvgpr_write_b32 a41, 0                                 // 0000000031BC: D3D94029 18000080
	buffer_load_dwordx4 v[84:87], v152, s[16:19], 0 offen offset:1024// 0000000031C4: E05C1400 80045498
	v_accvgpr_write_b32 a42, 0                                 // 0000000031CC: D3D9402A 18000080
	v_accvgpr_write_b32 a43, 0                                 // 0000000031D4: D3D9402B 18000080
	v_accvgpr_write_b32 a44, 0                                 // 0000000031DC: D3D9402C 18000080
	v_accvgpr_write_b32 a45, 0                                 // 0000000031E4: D3D9402D 18000080
	v_accvgpr_write_b32 a46, 0                                 // 0000000031EC: D3D9402E 18000080
	v_accvgpr_write_b32 a47, 0                                 // 0000000031F4: D3D9402F 18000080
	buffer_load_dword v140, v159, s[24:27], 0 offen            // 0000000031FC: E0501000 80068C9F
	v_accvgpr_write_b32 a48, 0                                 // 000000003204: D3D94030 18000080
	v_accvgpr_write_b32 a49, 0                                 // 00000000320C: D3D94031 18000080
	v_accvgpr_write_b32 a50, 0                                 // 000000003214: D3D94032 18000080
	v_accvgpr_write_b32 a51, 0                                 // 00000000321C: D3D94033 18000080
	v_accvgpr_write_b32 a52, 0                                 // 000000003224: D3D94034 18000080
	v_accvgpr_write_b32 a53, 0                                 // 00000000322C: D3D94035 18000080
	s_add_u32 s62, 0x200, s60                                  // 000000003234: 803E3CFF 00000200
	s_cmp_lt_u32 s62, s61                                      // 00000000323C: BF0A3D3E
	s_cselect_b32 s66, s66, 0                                  // 000000003240: 85428042
	s_cselect_b32 s68, s68, 0                                  // 000000003244: 85448044
	s_add_u32 s12, s12, s66                                    // 000000003248: 800C420C
	s_addc_u32 s13, 0, s13                                     // 00000000324C: 820D0D80
	s_sub_u32 s14, s14, s66                                    // 000000003250: 808E420E
	s_add_u32 s20, s20, s68                                    // 000000003254: 80144414
	s_addc_u32 s21, 0, s21                                     // 000000003258: 82151580
	s_sub_u32 s22, s22, s68                                    // 00000000325C: 80964416
	buffer_load_dwordx4 v[88:91], v153, s[16:19], 0 offen      // 000000003260: E05C1000 80045899
	v_accvgpr_write_b32 a54, 0                                 // 000000003268: D3D94036 18000080
	v_accvgpr_write_b32 a55, 0                                 // 000000003270: D3D94037 18000080
	v_accvgpr_write_b32 a56, 0                                 // 000000003278: D3D94038 18000080
	v_accvgpr_write_b32 a57, 0                                 // 000000003280: D3D94039 18000080
	v_accvgpr_write_b32 a58, 0                                 // 000000003288: D3D9403A 18000080
	v_accvgpr_write_b32 a59, 0                                 // 000000003290: D3D9403B 18000080
	buffer_load_dwordx4 v[92:95], v154, s[16:19], 0 offen      // 000000003298: E05C1000 80045C9A
	v_accvgpr_write_b32 a60, 0                                 // 0000000032A0: D3D9403C 18000080
	v_accvgpr_write_b32 a61, 0                                 // 0000000032A8: D3D9403D 18000080
	v_accvgpr_write_b32 a62, 0                                 // 0000000032B0: D3D9403E 18000080
	v_accvgpr_write_b32 a63, 0                                 // 0000000032B8: D3D9403F 18000080
	buffer_load_dwordx4 v[96:99], v153, s[16:19], 0 offen offset:1024// 0000000032C0: E05C1400 80046099
	buffer_load_dwordx4 v[100:103], v154, s[16:19], 0 offen offset:1024// 0000000032C8: E05C1400 8004649A
	buffer_load_dword v141, v160, s[24:27], 0 offen            // 0000000032D0: E0501000 80068DA0
	buffer_load_dwordx4 v[104:107], v155, s[16:19], 0 offen    // 0000000032D8: E05C1000 8004689B
	buffer_load_dwordx4 v[108:111], v156, s[16:19], 0 offen    // 0000000032E0: E05C1000 80046C9C
	buffer_load_dwordx4 v[112:115], v155, s[16:19], 0 offen offset:1024// 0000000032E8: E05C1400 8004709B
	buffer_load_dwordx4 v[116:119], v156, s[16:19], 0 offen offset:1024// 0000000032F0: E05C1400 8004749C
	buffer_load_dword v142, v161, s[24:27], 0 offen            // 0000000032F8: E0501000 80068EA1
	s_waitcnt vmcnt(15)                                        // 000000003300: BF8C0F7F
	s_barrier                                                  // 000000003304: BF8A0000
	ds_read_b128 v[8:11], v145                                 // 000000003308: D9FE0000 08000091
	ds_read_b128 v[16:19], v145 offset:64                      // 000000003310: D9FE0040 10000091
	ds_read_b128 v[12:15], v145 offset:512                     // 000000003318: D9FE0200 0C000091
	ds_read_b128 v[20:23], v145 offset:576                     // 000000003320: D9FE0240 14000091
	ds_read_b32 v136, v150                                     // 000000003328: D86C0000 88000096
	ds_read_b128 v[24:27], v146                                // 000000003330: D9FE0000 18000092
	ds_read_b128 v[32:35], v146 offset:64                      // 000000003338: D9FE0040 20000092
	ds_read_b128 v[28:31], v146 offset:512                     // 000000003340: D9FE0200 1C000092
	ds_read_b128 v[36:39], v146 offset:576                     // 000000003348: D9FE0240 24000092
	ds_read_b32 v137, v150 offset:1024                         // 000000003350: D86C0400 89000096
	s_nop 0                                                    // 000000003358: BF800000
	s_nop 0                                                    // 00000000335C: BF800000
	s_nop 0                                                    // 000000003360: BF800000
	s_nop 0                                                    // 000000003364: BF800000
	s_nop 0                                                    // 000000003368: BF800000
	s_lshl_b32 s36, s36, 1                                     // 00000000336C: 8E248124
	s_mul_i32 s62, s48, 32                                     // 000000003370: 923EA030
	s_mul_hi_u32 s63, s36, s62                                 // 000000003374: 963F3E24
	s_add_u32 s5, s5, s63                                      // 000000003378: 80053F05
	s_mul_i32 s63, s36, s62                                    // 00000000337C: 923F3E24
	s_add_u32 s4, s4, s63                                      // 000000003380: 80043F04
	s_addc_u32 s5, s5, 0                                       // 000000003384: 82058005
	s_mul_i32 s63, s47, 0x200                                  // 000000003388: 923FFF2F 00000200
	s_lshl_b32 s63, s63, 1                                     // 000000003390: 8E3F813F
	s_add_u32 s4, s4, s63                                      // 000000003394: 80043F04
	s_addc_u32 s5, s5, 0                                       // 000000003398: 82058005
	s_sub_i32 s62, s43, s62                                    // 00000000339C: 81BE3E2B
	s_cmp_lt_u32 s62, 32                                       // 0000000033A0: BF0AA03E
	s_cselect_b32 s62, s62, 32                                 // 0000000033A4: 853EA03E
	s_mul_i32 s62, s36, s62                                    // 0000000033A8: 923E3E24
	s_sub_i32 s6, s62, s63                                     // 0000000033AC: 81863F3E
	s_mov_b32 s7, 0x20000                                      // 0000000033B0: BE8700FF 00020000
	s_mul_i32 s62, s46, 0x80                                   // 0000000033B8: 923EFF2E 00000080
	s_lshl_b32 s62, s62, 1                                     // 0000000033C0: 8E3E813E
	v_lshrrev_b32_e32 v4, 5, v0                                // 0000000033C4: 20080085
	v_mul_i32_i24_e32 v4, 16, v4                               // 0000000033C8: 0C080890
	v_lshrrev_b32_e32 v5, 4, v0                                // 0000000033CC: 200A0084
	v_and_b32_e32 v5, 1, v5                                    // 0000000033D0: 260A0A81
	v_mul_i32_i24_e32 v5, 32, v5                               // 0000000033D4: 0C0A0AA0
	v_add_u32_e32 v4, v4, v5                                   // 0000000033D8: 68080B04
	v_and_b32_e32 v5, 15, v0                                   // 0000000033DC: 260A008F
	v_mul_lo_u32 v163, s36, v5                                 // 0000000033E0: D28500A3 00020A24
	v_add_u32_e32 v163, s62, v163                              // 0000000033E8: 6947463E
	v_add_u32_e32 v163, v4, v163                               // 0000000033EC: 69474704
	s_cmp_lt_i32 s46, 2                                        // 0000000033F0: BF04822E
	s_cbranch_scc0 label_055D                                  // 0000000033F4: BF84035F

00000000000033f8 <label_01FE>:
	s_waitcnt vmcnt(10) lgkmcnt(5)                             // 0000000033F8: BF8C057A
	v_mfma_scale_f32_16x16x128_f8f6f4 a[0:3], v[72:75], v[8:11], a[0:3], v140, v136 op_sel_hi:[0,0,0] cbsz:4 blgp:4// 0000000033FC: D3AC6000 0003118C D3AD8C00 84021148
	s_add_u32 s63, 0x100, s60                                  // 00000000340C: 803F3CFF 00000100
	s_cmp_lt_u32 s63, s61                                      // 000000003414: BF0A3D3F
	v_mfma_scale_f32_16x16x128_f8f6f4 a[4:7], v[72:75], v[12:15], a[4:7], v140, v136 op_sel_hi:[0,0,0] cbsz:4 blgp:4// 000000003418: D3AC7000 0003118C D3AD8C04 84121948
	s_cselect_b32 s67, s67, 0                                  // 000000003428: 85438043
	buffer_load_dwordx4 v[120:123], v157, s[16:19], 0 offen    // 00000000342C: E05C1000 8004789D
	v_mfma_scale_f32_16x16x128_f8f6f4 a[8:11], v[76:79], v[8:11], a[8:11], v140, v136 op_sel_hi:[0,0,0] cbsz:4 blgp:4// 000000003434: D3AC6800 0003118C D3AD8C08 8422114C
	s_cselect_b32 s69, s69, 0                                  // 000000003444: 85458045
	v_mfma_scale_f32_16x16x128_f8f6f4 a[12:15], v[76:79], v[12:15], a[12:15], v140, v136 op_sel_hi:[0,0,0] cbsz:4 blgp:4// 000000003448: D3AC7800 0003118C D3AD8C0C 8432194C
	buffer_load_dwordx4 v[124:127], v158, s[16:19], 0 offen    // 000000003458: E05C1000 80047C9E
	v_mfma_scale_f32_16x16x128_f8f6f4 a[0:3], v[80:83], v[16:19], a[0:3], v140, v136 op_sel_hi:[0,0,0] cbsz:4 blgp:4// 000000003460: D3AC6000 1803118C D3AD8C00 84022150
	v_mfma_scale_f32_16x16x128_f8f6f4 a[4:7], v[80:83], v[20:23], a[4:7], v140, v136 op_sel_hi:[0,0,0] cbsz:4 blgp:4// 000000003470: D3AC7000 1803118C D3AD8C04 84122950
	buffer_load_dwordx4 v[128:131], v157, s[16:19], 0 offen offset:1024// 000000003480: E05C1400 8004809D
	v_mfma_scale_f32_16x16x128_f8f6f4 a[8:11], v[84:87], v[16:19], a[8:11], v140, v136 op_sel_hi:[0,0,0] cbsz:4 blgp:4// 000000003488: D3AC6800 1803118C D3AD8C08 84222154
	v_mfma_scale_f32_16x16x128_f8f6f4 a[12:15], v[84:87], v[20:23], a[12:15], v140, v136 op_sel_hi:[0,0,0] cbsz:4 blgp:4// 000000003498: D3AC7800 1803118C D3AD8C0C 84322954
	buffer_load_dwordx4 v[132:135], v158, s[16:19], 0 offen offset:1024// 0000000034A8: E05C1400 8004849E
	buffer_load_dword v143, v162, s[24:27], 0 offen            // 0000000034B0: E0501000 80068FA2
	s_add_u32 s16, s16, s67                                    // 0000000034B8: 80104310
	s_addc_u32 s17, 0, s17                                     // 0000000034BC: 82111180
	s_sub_u32 s18, s18, s67                                    // 0000000034C0: 80924312
	s_add_u32 s24, s24, s69                                    // 0000000034C4: 80184518
	s_addc_u32 s25, 0, s25                                     // 0000000034C8: 82191980
	s_sub_u32 s26, s26, s69                                    // 0000000034CC: 809A451A
	s_add_u32 m0, 0x800, s65                                   // 0000000034D0: 807C41FF 00000800
	buffer_load_dword v149, s[20:23], 0 offen lds              // 0000000034D8: E0511000 80050095
	s_waitcnt vmcnt(11)                                        // 0000000034E0: BF8C0F7B
	v_mfma_scale_f32_16x16x128_f8f6f4 a[16:19], v[88:91], v[8:11], a[16:19], v141, v136 op_sel_hi:[0,0,0] cbsz:4 blgp:4// 0000000034E4: D3AC6000 0003118D D3AD8C10 84421158
	v_mfma_scale_f32_16x16x128_f8f6f4 a[20:23], v[88:91], v[12:15], a[20:23], v141, v136 op_sel_hi:[0,0,0] cbsz:4 blgp:4// 0000000034F4: D3AC7000 0003118D D3AD8C14 84521958
	s_add_u32 m0, 0x2100, s64                                  // 000000003504: 807C40FF 00002100
	buffer_load_dwordx4 v144, s[12:15], 0 offen lds            // 00000000350C: E05D1000 80030090
	v_mfma_scale_f32_16x16x128_f8f6f4 a[24:27], v[92:95], v[8:11], a[24:27], v141, v136 op_sel_hi:[0,0,0] cbsz:4 blgp:4// 000000003514: D3AC6800 0003118D D3AD8C18 8462115C
	s_add_u32 s62, 0x300, s60                                  // 000000003524: 803E3CFF 00000300
	s_cmp_lt_u32 s62, s61                                      // 00000000352C: BF0A3D3E
	v_mfma_scale_f32_16x16x128_f8f6f4 a[28:31], v[92:95], v[12:15], a[28:31], v141, v136 op_sel_hi:[0,0,0] cbsz:4 blgp:4// 000000003530: D3AC7800 0003118D D3AD8C1C 8472195C
	s_cselect_b32 s66, s66, 0                                  // 000000003540: 85428042
	buffer_load_dwordx4 v[72:75], v151, s[16:19], 0 offen      // 000000003544: E05C1000 80044897
	v_mfma_scale_f32_16x16x128_f8f6f4 a[16:19], v[96:99], v[16:19], a[16:19], v141, v136 op_sel_hi:[0,0,0] cbsz:4 blgp:4// 00000000354C: D3AC6000 1803118D D3AD8C10 84422160
	s_cselect_b32 s68, s68, 0                                  // 00000000355C: 85448044
	s_add_u32 s12, s12, s66                                    // 000000003560: 800C420C
	v_mfma_scale_f32_16x16x128_f8f6f4 a[20:23], v[96:99], v[20:23], a[20:23], v141, v136 op_sel_hi:[0,0,0] cbsz:4 blgp:4// 000000003564: D3AC7000 1803118D D3AD8C14 84522960
	s_addc_u32 s13, 0, s13                                     // 000000003574: 820D0D80
	buffer_load_dwordx4 v[76:79], v152, s[16:19], 0 offen      // 000000003578: E05C1000 80044C98
	v_mfma_scale_f32_16x16x128_f8f6f4 a[24:27], v[100:103], v[16:19], a[24:27], v141, v136 op_sel_hi:[0,0,0] cbsz:4 blgp:4// 000000003580: D3AC6800 1803118D D3AD8C18 84622164
	s_sub_u32 s14, s14, s66                                    // 000000003590: 808E420E
	s_add_u32 s20, s20, s68                                    // 000000003594: 80144414
	v_mfma_scale_f32_16x16x128_f8f6f4 a[28:31], v[100:103], v[20:23], a[28:31], v141, v136 op_sel_hi:[0,0,0] cbsz:4 blgp:4// 000000003598: D3AC7800 1803118D D3AD8C1C 84722964
	s_addc_u32 s21, 0, s21                                     // 0000000035A8: 82151580
	buffer_load_dwordx4 v[80:83], v151, s[16:19], 0 offen offset:1024// 0000000035AC: E05C1400 80045097
	s_sub_u32 s22, s22, s68                                    // 0000000035B4: 80964416
	buffer_load_dwordx4 v[84:87], v152, s[16:19], 0 offen offset:1024// 0000000035B8: E05C1400 80045498
	buffer_load_dword v140, v159, s[24:27], 0 offen            // 0000000035C0: E0501000 80068C9F
	s_waitcnt vmcnt(12)                                        // 0000000035C8: BF8C0F7C
	v_mfma_scale_f32_16x16x128_f8f6f4 a[32:35], v[104:107], v[8:11], a[32:35], v142, v136 op_sel_hi:[0,0,0] cbsz:4 blgp:4// 0000000035CC: D3AC6000 0003118E D3AD8C20 84821168
	v_mfma_scale_f32_16x16x128_f8f6f4 a[36:39], v[104:107], v[12:15], a[36:39], v142, v136 op_sel_hi:[0,0,0] cbsz:4 blgp:4// 0000000035DC: D3AC7000 0003118E D3AD8C24 84921968
	buffer_load_dwordx4 v[88:91], v153, s[16:19], 0 offen      // 0000000035EC: E05C1000 80045899
	v_mfma_scale_f32_16x16x128_f8f6f4 a[40:43], v[108:111], v[8:11], a[40:43], v142, v136 op_sel_hi:[0,0,0] cbsz:4 blgp:4// 0000000035F4: D3AC6800 0003118E D3AD8C28 84A2116C
	v_mfma_scale_f32_16x16x128_f8f6f4 a[44:47], v[108:111], v[12:15], a[44:47], v142, v136 op_sel_hi:[0,0,0] cbsz:4 blgp:4// 000000003604: D3AC7800 0003118E D3AD8C2C 84B2196C
	buffer_load_dwordx4 v[92:95], v154, s[16:19], 0 offen      // 000000003614: E05C1000 80045C9A
	v_mfma_scale_f32_16x16x128_f8f6f4 a[32:35], v[112:115], v[16:19], a[32:35], v142, v136 op_sel_hi:[0,0,0] cbsz:4 blgp:4// 00000000361C: D3AC6000 1803118E D3AD8C20 84822170
	v_mfma_scale_f32_16x16x128_f8f6f4 a[36:39], v[112:115], v[20:23], a[36:39], v142, v136 op_sel_hi:[0,0,0] cbsz:4 blgp:4// 00000000362C: D3AC7000 1803118E D3AD8C24 84922970
	buffer_load_dwordx4 v[96:99], v153, s[16:19], 0 offen offset:1024// 00000000363C: E05C1400 80046099
	v_mfma_scale_f32_16x16x128_f8f6f4 a[40:43], v[116:119], v[16:19], a[40:43], v142, v136 op_sel_hi:[0,0,0] cbsz:4 blgp:4// 000000003644: D3AC6800 1803118E D3AD8C28 84A22174
	v_mfma_scale_f32_16x16x128_f8f6f4 a[44:47], v[116:119], v[20:23], a[44:47], v142, v136 op_sel_hi:[0,0,0] cbsz:4 blgp:4// 000000003654: D3AC7800 1803118E D3AD8C2C 84B22974
	buffer_load_dwordx4 v[100:103], v154, s[16:19], 0 offen offset:1024// 000000003664: E05C1400 8004649A
	buffer_load_dword v141, v160, s[24:27], 0 offen            // 00000000366C: E0501000 80068DA0
	s_waitcnt vmcnt(10)                                        // 000000003674: BF8C0F7A
	s_barrier                                                  // 000000003678: BF8A0000
	v_mfma_scale_f32_16x16x128_f8f6f4 a[48:51], v[120:123], v[8:11], a[48:51], v143, v136 op_sel_hi:[0,0,0] cbsz:4 blgp:4// 00000000367C: D3AC6000 0003118F D3AD8C30 84C21178
	s_addk_i32 s60, 0x100                                      // 00000000368C: B73C0100
	ds_read_b128 v[40:43], v147                                // 000000003690: D9FE0000 28000093
	v_mfma_scale_f32_16x16x128_f8f6f4 a[52:55], v[120:123], v[12:15], a[52:55], v143, v136 op_sel_hi:[0,0,0] cbsz:4 blgp:4// 000000003698: D3AC7000 0003118F D3AD8C34 84D21978
	s_cmp_lt_i32 s60, s61                                      // 0000000036A8: BF043D3C
	buffer_load_dwordx4 v[104:107], v155, s[16:19], 0 offen    // 0000000036AC: E05C1000 8004689B
	v_mfma_scale_f32_16x16x128_f8f6f4 a[56:59], v[124:127], v[8:11], a[56:59], v143, v136 op_sel_hi:[0,0,0] cbsz:4 blgp:4// 0000000036B4: D3AC6800 0003118F D3AD8C38 84E2117C
	ds_read_b128 v[48:51], v147 offset:64                      // 0000000036C4: D9FE0040 30000093
	v_mfma_scale_f32_16x16x128_f8f6f4 a[60:63], v[124:127], v[12:15], a[60:63], v143, v136 op_sel_hi:[0,0,0] cbsz:4 blgp:4// 0000000036CC: D3AC7800 0003118F D3AD8C3C 84F2197C
	buffer_load_dwordx4 v[108:111], v156, s[16:19], 0 offen    // 0000000036DC: E05C1000 80046C9C
	v_mfma_scale_f32_16x16x128_f8f6f4 a[48:51], v[128:131], v[16:19], a[48:51], v143, v136 op_sel_hi:[0,0,0] cbsz:4 blgp:4// 0000000036E4: D3AC6000 1803118F D3AD8C30 84C22180
	ds_read_b128 v[44:47], v147 offset:512                     // 0000000036F4: D9FE0200 2C000093
	v_mfma_scale_f32_16x16x128_f8f6f4 a[52:55], v[128:131], v[20:23], a[52:55], v143, v136 op_sel_hi:[0,0,0] cbsz:4 blgp:4// 0000000036FC: D3AC7000 1803118F D3AD8C34 84D22980
	buffer_load_dwordx4 v[112:115], v155, s[16:19], 0 offen offset:1024// 00000000370C: E05C1400 8004709B
	v_mfma_scale_f32_16x16x128_f8f6f4 a[56:59], v[132:135], v[16:19], a[56:59], v143, v136 op_sel_hi:[0,0,0] cbsz:4 blgp:4// 000000003714: D3AC6800 1803118F D3AD8C38 84E22184
	ds_read_b128 v[52:55], v147 offset:576                     // 000000003724: D9FE0240 34000093
	v_mfma_scale_f32_16x16x128_f8f6f4 a[60:63], v[132:135], v[20:23], a[60:63], v143, v136 op_sel_hi:[0,0,0] cbsz:4 blgp:4// 00000000372C: D3AC7800 1803118F D3AD8C3C 84F22984
	buffer_load_dwordx4 v[116:119], v156, s[16:19], 0 offen offset:1024// 00000000373C: E05C1400 8004749C
	ds_read_b32 v138, v150 offset:2048                         // 000000003744: D86C0800 8A000096
	buffer_load_dword v142, v161, s[24:27], 0 offen            // 00000000374C: E0501000 80068EA1
	s_cbranch_scc0 label_08BC                                  // 000000003754: BF8405E6
	s_waitcnt vmcnt(10) lgkmcnt(5)                             // 000000003758: BF8C057A
	v_mfma_scale_f32_16x16x128_f8f6f4 a[0:3], v[72:75], v[24:27], a[0:3], v140, v137 op_sel_hi:[0,0,0] cbsz:4 blgp:4// 00000000375C: D3AC6000 0003138C D3AD8C00 84023148
	s_add_u32 s63, 0x100, s60                                  // 00000000376C: 803F3CFF 00000100
	s_cmp_lt_u32 s63, s61                                      // 000000003774: BF0A3D3F
	v_mfma_scale_f32_16x16x128_f8f6f4 a[4:7], v[72:75], v[28:31], a[4:7], v140, v137 op_sel_hi:[0,0,0] cbsz:4 blgp:4// 000000003778: D3AC7000 0003138C D3AD8C04 84123948
	s_cselect_b32 s67, s67, 0                                  // 000000003788: 85438043
	buffer_load_dwordx4 v[120:123], v157, s[16:19], 0 offen    // 00000000378C: E05C1000 8004789D
	v_mfma_scale_f32_16x16x128_f8f6f4 a[8:11], v[76:79], v[24:27], a[8:11], v140, v137 op_sel_hi:[0,0,0] cbsz:4 blgp:4// 000000003794: D3AC6800 0003138C D3AD8C08 8422314C
	s_cselect_b32 s69, s69, 0                                  // 0000000037A4: 85458045
	v_mfma_scale_f32_16x16x128_f8f6f4 a[12:15], v[76:79], v[28:31], a[12:15], v140, v137 op_sel_hi:[0,0,0] cbsz:4 blgp:4// 0000000037A8: D3AC7800 0003138C D3AD8C0C 8432394C
	buffer_load_dwordx4 v[124:127], v158, s[16:19], 0 offen    // 0000000037B8: E05C1000 80047C9E
	v_mfma_scale_f32_16x16x128_f8f6f4 a[0:3], v[80:83], v[32:35], a[0:3], v140, v137 op_sel_hi:[0,0,0] cbsz:4 blgp:4// 0000000037C0: D3AC6000 1803138C D3AD8C00 84024150
	v_mfma_scale_f32_16x16x128_f8f6f4 a[4:7], v[80:83], v[36:39], a[4:7], v140, v137 op_sel_hi:[0,0,0] cbsz:4 blgp:4// 0000000037D0: D3AC7000 1803138C D3AD8C04 84124950
	buffer_load_dwordx4 v[128:131], v157, s[16:19], 0 offen offset:1024// 0000000037E0: E05C1400 8004809D
	v_mfma_scale_f32_16x16x128_f8f6f4 a[8:11], v[84:87], v[32:35], a[8:11], v140, v137 op_sel_hi:[0,0,0] cbsz:4 blgp:4// 0000000037E8: D3AC6800 1803138C D3AD8C08 84224154
	v_mfma_scale_f32_16x16x128_f8f6f4 a[12:15], v[84:87], v[36:39], a[12:15], v140, v137 op_sel_hi:[0,0,0] cbsz:4 blgp:4// 0000000037F8: D3AC7800 1803138C D3AD8C0C 84324954
	buffer_load_dwordx4 v[132:135], v158, s[16:19], 0 offen offset:1024// 000000003808: E05C1400 8004849E
	buffer_load_dword v143, v162, s[24:27], 0 offen            // 000000003810: E0501000 80068FA2
	s_add_u32 s16, s16, s67                                    // 000000003818: 80104310
	s_addc_u32 s17, 0, s17                                     // 00000000381C: 82111180
	s_sub_u32 s18, s18, s67                                    // 000000003820: 80924312
	s_add_u32 s24, s24, s69                                    // 000000003824: 80184518
	s_addc_u32 s25, 0, s25                                     // 000000003828: 82191980
	s_sub_u32 s26, s26, s69                                    // 00000000382C: 809A451A
	s_add_u32 m0, 0xc00, s65                                   // 000000003830: 807C41FF 00000C00
	buffer_load_dword v149, s[20:23], 0 offen lds              // 000000003838: E0511000 80050095
	s_waitcnt vmcnt(11)                                        // 000000003840: BF8C0F7B
	v_mfma_scale_f32_16x16x128_f8f6f4 a[16:19], v[88:91], v[24:27], a[16:19], v141, v137 op_sel_hi:[0,0,0] cbsz:4 blgp:4// 000000003844: D3AC6000 0003138D D3AD8C10 84423158
	v_mfma_scale_f32_16x16x128_f8f6f4 a[20:23], v[88:91], v[28:31], a[20:23], v141, v137 op_sel_hi:[0,0,0] cbsz:4 blgp:4// 000000003854: D3AC7000 0003138D D3AD8C14 84523958
	s_add_u32 m0, 0x3180, s64                                  // 000000003864: 807C40FF 00003180
	buffer_load_dwordx4 v144, s[12:15], 0 offen lds            // 00000000386C: E05D1000 80030090
	v_mfma_scale_f32_16x16x128_f8f6f4 a[24:27], v[92:95], v[24:27], a[24:27], v141, v137 op_sel_hi:[0,0,0] cbsz:4 blgp:4// 000000003874: D3AC6800 0003138D D3AD8C18 8462315C
	s_add_u32 s62, 0x300, s60                                  // 000000003884: 803E3CFF 00000300
	s_cmp_lt_u32 s62, s61                                      // 00000000388C: BF0A3D3E
	v_mfma_scale_f32_16x16x128_f8f6f4 a[28:31], v[92:95], v[28:31], a[28:31], v141, v137 op_sel_hi:[0,0,0] cbsz:4 blgp:4// 000000003890: D3AC7800 0003138D D3AD8C1C 8472395C
	s_cselect_b32 s66, s66, 0                                  // 0000000038A0: 85428042
	buffer_load_dwordx4 v[72:75], v151, s[16:19], 0 offen      // 0000000038A4: E05C1000 80044897
	v_mfma_scale_f32_16x16x128_f8f6f4 a[16:19], v[96:99], v[32:35], a[16:19], v141, v137 op_sel_hi:[0,0,0] cbsz:4 blgp:4// 0000000038AC: D3AC6000 1803138D D3AD8C10 84424160
	s_cselect_b32 s68, s68, 0                                  // 0000000038BC: 85448044
	s_add_u32 s12, s12, s66                                    // 0000000038C0: 800C420C
	v_mfma_scale_f32_16x16x128_f8f6f4 a[20:23], v[96:99], v[36:39], a[20:23], v141, v137 op_sel_hi:[0,0,0] cbsz:4 blgp:4// 0000000038C4: D3AC7000 1803138D D3AD8C14 84524960
	s_addc_u32 s13, 0, s13                                     // 0000000038D4: 820D0D80
	buffer_load_dwordx4 v[76:79], v152, s[16:19], 0 offen      // 0000000038D8: E05C1000 80044C98
	v_mfma_scale_f32_16x16x128_f8f6f4 a[24:27], v[100:103], v[32:35], a[24:27], v141, v137 op_sel_hi:[0,0,0] cbsz:4 blgp:4// 0000000038E0: D3AC6800 1803138D D3AD8C18 84624164
	s_sub_u32 s14, s14, s66                                    // 0000000038F0: 808E420E
	s_add_u32 s20, s20, s68                                    // 0000000038F4: 80144414
	v_mfma_scale_f32_16x16x128_f8f6f4 a[28:31], v[100:103], v[36:39], a[28:31], v141, v137 op_sel_hi:[0,0,0] cbsz:4 blgp:4// 0000000038F8: D3AC7800 1803138D D3AD8C1C 84724964
	s_addc_u32 s21, 0, s21                                     // 000000003908: 82151580
	buffer_load_dwordx4 v[80:83], v151, s[16:19], 0 offen offset:1024// 00000000390C: E05C1400 80045097
	s_sub_u32 s22, s22, s68                                    // 000000003914: 80964416
	buffer_load_dwordx4 v[84:87], v152, s[16:19], 0 offen offset:1024// 000000003918: E05C1400 80045498
	buffer_load_dword v140, v159, s[24:27], 0 offen            // 000000003920: E0501000 80068C9F
	s_waitcnt vmcnt(12)                                        // 000000003928: BF8C0F7C
	v_mfma_scale_f32_16x16x128_f8f6f4 a[32:35], v[104:107], v[24:27], a[32:35], v142, v137 op_sel_hi:[0,0,0] cbsz:4 blgp:4// 00000000392C: D3AC6000 0003138E D3AD8C20 84823168
	v_mfma_scale_f32_16x16x128_f8f6f4 a[36:39], v[104:107], v[28:31], a[36:39], v142, v137 op_sel_hi:[0,0,0] cbsz:4 blgp:4// 00000000393C: D3AC7000 0003138E D3AD8C24 84923968
	buffer_load_dwordx4 v[88:91], v153, s[16:19], 0 offen      // 00000000394C: E05C1000 80045899
	v_mfma_scale_f32_16x16x128_f8f6f4 a[40:43], v[108:111], v[24:27], a[40:43], v142, v137 op_sel_hi:[0,0,0] cbsz:4 blgp:4// 000000003954: D3AC6800 0003138E D3AD8C28 84A2316C
	v_mfma_scale_f32_16x16x128_f8f6f4 a[44:47], v[108:111], v[28:31], a[44:47], v142, v137 op_sel_hi:[0,0,0] cbsz:4 blgp:4// 000000003964: D3AC7800 0003138E D3AD8C2C 84B2396C
	buffer_load_dwordx4 v[92:95], v154, s[16:19], 0 offen      // 000000003974: E05C1000 80045C9A
	v_mfma_scale_f32_16x16x128_f8f6f4 a[32:35], v[112:115], v[32:35], a[32:35], v142, v137 op_sel_hi:[0,0,0] cbsz:4 blgp:4// 00000000397C: D3AC6000 1803138E D3AD8C20 84824170
	v_mfma_scale_f32_16x16x128_f8f6f4 a[36:39], v[112:115], v[36:39], a[36:39], v142, v137 op_sel_hi:[0,0,0] cbsz:4 blgp:4// 00000000398C: D3AC7000 1803138E D3AD8C24 84924970
	buffer_load_dwordx4 v[96:99], v153, s[16:19], 0 offen offset:1024// 00000000399C: E05C1400 80046099
	v_mfma_scale_f32_16x16x128_f8f6f4 a[40:43], v[116:119], v[32:35], a[40:43], v142, v137 op_sel_hi:[0,0,0] cbsz:4 blgp:4// 0000000039A4: D3AC6800 1803138E D3AD8C28 84A24174
	v_mfma_scale_f32_16x16x128_f8f6f4 a[44:47], v[116:119], v[36:39], a[44:47], v142, v137 op_sel_hi:[0,0,0] cbsz:4 blgp:4// 0000000039B4: D3AC5800 1803138E D3AD8C2C 84B24974
	buffer_load_dwordx4 v[100:103], v154, s[16:19], 0 offen offset:1024// 0000000039C4: E05C1400 8004649A
	buffer_load_dword v141, v160, s[24:27], 0 offen            // 0000000039CC: E0501000 80068DA0
	s_waitcnt vmcnt(10)                                        // 0000000039D4: BF8C0F7A
	s_barrier                                                  // 0000000039D8: BF8A0000
	v_mfma_scale_f32_16x16x128_f8f6f4 a[48:51], v[120:123], v[24:27], a[48:51], v143, v137 op_sel_hi:[0,0,0] cbsz:4 blgp:4// 0000000039DC: D3AC6000 0003138F D3AD8C30 84C23178
	s_addk_i32 s60, 0x100                                      // 0000000039EC: B73C0100
	ds_read_b128 v[56:59], v148                                // 0000000039F0: D9FE0000 38000094
	v_mfma_scale_f32_16x16x128_f8f6f4 a[52:55], v[120:123], v[28:31], a[52:55], v143, v137 op_sel_hi:[0,0,0] cbsz:4 blgp:4// 0000000039F8: D3AC7000 0003138F D3AD8C34 84D23978
	s_cmp_lt_i32 s60, s61                                      // 000000003A08: BF043D3C
	buffer_load_dwordx4 v[104:107], v155, s[16:19], 0 offen    // 000000003A0C: E05C1000 8004689B
	v_mfma_scale_f32_16x16x128_f8f6f4 a[56:59], v[124:127], v[24:27], a[56:59], v143, v137 op_sel_hi:[0,0,0] cbsz:4 blgp:4// 000000003A14: D3AC6800 0003138F D3AD8C38 84E2317C
	ds_read_b128 v[64:67], v148 offset:64                      // 000000003A24: D9FE0040 40000094
	v_mfma_scale_f32_16x16x128_f8f6f4 a[60:63], v[124:127], v[28:31], a[60:63], v143, v137 op_sel_hi:[0,0,0] cbsz:4 blgp:4// 000000003A2C: D3AC7800 0003138F D3AD8C3C 84F2397C
	buffer_load_dwordx4 v[108:111], v156, s[16:19], 0 offen    // 000000003A3C: E05C1000 80046C9C
	v_mfma_scale_f32_16x16x128_f8f6f4 a[48:51], v[128:131], v[32:35], a[48:51], v143, v137 op_sel_hi:[0,0,0] cbsz:4 blgp:4// 000000003A44: D3AC6000 1803138F D3AD8C30 84C24180
	ds_read_b128 v[60:63], v148 offset:512                     // 000000003A54: D9FE0200 3C000094
	v_mfma_scale_f32_16x16x128_f8f6f4 a[52:55], v[128:131], v[36:39], a[52:55], v143, v137 op_sel_hi:[0,0,0] cbsz:4 blgp:4// 000000003A5C: D3AC7000 1803138F D3AD8C34 84D24980
	buffer_load_dwordx4 v[112:115], v155, s[16:19], 0 offen offset:1024// 000000003A6C: E05C1400 8004709B
	v_mfma_scale_f32_16x16x128_f8f6f4 a[56:59], v[132:135], v[32:35], a[56:59], v143, v137 op_sel_hi:[0,0,0] cbsz:4 blgp:4// 000000003A74: D3AC6800 1803138F D3AD8C38 84E24184
	ds_read_b128 v[68:71], v148 offset:576                     // 000000003A84: D9FE0240 44000094
	v_mfma_scale_f32_16x16x128_f8f6f4 a[60:63], v[132:135], v[36:39], a[60:63], v143, v137 op_sel_hi:[0,0,0] cbsz:4 blgp:4// 000000003A8C: D3AC7800 1803138F D3AD8C3C 84F24984
	buffer_load_dwordx4 v[116:119], v156, s[16:19], 0 offen offset:1024// 000000003A9C: E05C1400 8004749C
	ds_read_b32 v139, v150 offset:3072                         // 000000003AA4: D86C0C00 8B000096
	buffer_load_dword v142, v161, s[24:27], 0 offen            // 000000003AAC: E0501000 80068EA1
	s_cbranch_scc0 label_08BC                                  // 000000003AB4: BF84050E
	s_waitcnt vmcnt(10) lgkmcnt(5)                             // 000000003AB8: BF8C057A
	v_mfma_scale_f32_16x16x128_f8f6f4 a[0:3], v[72:75], v[40:43], a[0:3], v140, v138 op_sel_hi:[0,0,0] cbsz:4 blgp:4// 000000003ABC: D3AC6000 0003158C D3AD8C00 84025148
	s_add_u32 s63, 0x100, s60                                  // 000000003ACC: 803F3CFF 00000100
	s_cmp_lt_u32 s63, s61                                      // 000000003AD4: BF0A3D3F
	v_mfma_scale_f32_16x16x128_f8f6f4 a[4:7], v[72:75], v[44:47], a[4:7], v140, v138 op_sel_hi:[0,0,0] cbsz:4 blgp:4// 000000003AD8: D3AC7000 0003158C D3AD8C04 84125948
	s_cselect_b32 s67, s67, 0                                  // 000000003AE8: 85438043
	buffer_load_dwordx4 v[120:123], v157, s[16:19], 0 offen    // 000000003AEC: E05C1000 8004789D
	v_mfma_scale_f32_16x16x128_f8f6f4 a[8:11], v[76:79], v[40:43], a[8:11], v140, v138 op_sel_hi:[0,0,0] cbsz:4 blgp:4// 000000003AF4: D3AC6800 0003158C D3AD8C08 8422514C
	s_cselect_b32 s69, s69, 0                                  // 000000003B04: 85458045
	v_mfma_scale_f32_16x16x128_f8f6f4 a[12:15], v[76:79], v[44:47], a[12:15], v140, v138 op_sel_hi:[0,0,0] cbsz:4 blgp:4// 000000003B08: D3AC7800 0003158C D3AD8C0C 8432594C
	buffer_load_dwordx4 v[124:127], v158, s[16:19], 0 offen    // 000000003B18: E05C1000 80047C9E
	v_mfma_scale_f32_16x16x128_f8f6f4 a[0:3], v[80:83], v[48:51], a[0:3], v140, v138 op_sel_hi:[0,0,0] cbsz:4 blgp:4// 000000003B20: D3AC6000 1803158C D3AD8C00 84026150
	v_mfma_scale_f32_16x16x128_f8f6f4 a[4:7], v[80:83], v[52:55], a[4:7], v140, v138 op_sel_hi:[0,0,0] cbsz:4 blgp:4// 000000003B30: D3AC7000 1803158C D3AD8C04 84126950
	buffer_load_dwordx4 v[128:131], v157, s[16:19], 0 offen offset:1024// 000000003B40: E05C1400 8004809D
	v_mfma_scale_f32_16x16x128_f8f6f4 a[8:11], v[84:87], v[48:51], a[8:11], v140, v138 op_sel_hi:[0,0,0] cbsz:4 blgp:4// 000000003B48: D3AC6800 1803158C D3AD8C08 84226154
	v_mfma_scale_f32_16x16x128_f8f6f4 a[12:15], v[84:87], v[52:55], a[12:15], v140, v138 op_sel_hi:[0,0,0] cbsz:4 blgp:4// 000000003B58: D3AC7800 1803158C D3AD8C0C 84326954
	buffer_load_dwordx4 v[132:135], v158, s[16:19], 0 offen offset:1024// 000000003B68: E05C1400 8004849E
	buffer_load_dword v143, v162, s[24:27], 0 offen            // 000000003B70: E0501000 80068FA2
	s_add_u32 s16, s16, s67                                    // 000000003B78: 80104310
	s_addc_u32 s17, 0, s17                                     // 000000003B7C: 82111180
	s_sub_u32 s18, s18, s67                                    // 000000003B80: 80924312
	s_add_u32 s24, s24, s69                                    // 000000003B84: 80184518
	s_addc_u32 s25, 0, s25                                     // 000000003B88: 82191980
	s_sub_u32 s26, s26, s69                                    // 000000003B8C: 809A451A
	s_add_u32 m0, 0, s65                                       // 000000003B90: 807C4180
	buffer_load_dword v149, s[20:23], 0 offen lds              // 000000003B94: E0511000 80050095
	s_waitcnt vmcnt(11)                                        // 000000003B9C: BF8C0F7B
	v_mfma_scale_f32_16x16x128_f8f6f4 a[16:19], v[88:91], v[40:43], a[16:19], v141, v138 op_sel_hi:[0,0,0] cbsz:4 blgp:4// 000000003BA0: D3AC6000 0003158D D3AD8C10 84425158
	v_mfma_scale_f32_16x16x128_f8f6f4 a[20:23], v[88:91], v[44:47], a[20:23], v141, v138 op_sel_hi:[0,0,0] cbsz:4 blgp:4// 000000003BB0: D3AC7000 0003158D D3AD8C14 84525958
	s_add_u32 m0, 0, s64                                       // 000000003BC0: 807C4080
	buffer_load_dwordx4 v144, s[12:15], 0 offen lds            // 000000003BC4: E05D1000 80030090
	v_mfma_scale_f32_16x16x128_f8f6f4 a[24:27], v[92:95], v[40:43], a[24:27], v141, v138 op_sel_hi:[0,0,0] cbsz:4 blgp:4// 000000003BCC: D3AC6800 0003158D D3AD8C18 8462515C
	s_add_u32 s62, 0x300, s60                                  // 000000003BDC: 803E3CFF 00000300
	s_cmp_lt_u32 s62, s61                                      // 000000003BE4: BF0A3D3E
	v_mfma_scale_f32_16x16x128_f8f6f4 a[28:31], v[92:95], v[44:47], a[28:31], v141, v138 op_sel_hi:[0,0,0] cbsz:4 blgp:4// 000000003BE8: D3AC7800 0003158D D3AD8C1C 8472595C
	s_cselect_b32 s66, s66, 0                                  // 000000003BF8: 85428042
	buffer_load_dwordx4 v[72:75], v151, s[16:19], 0 offen      // 000000003BFC: E05C1000 80044897
	v_mfma_scale_f32_16x16x128_f8f6f4 a[16:19], v[96:99], v[48:51], a[16:19], v141, v138 op_sel_hi:[0,0,0] cbsz:4 blgp:4// 000000003C04: D3AC6000 1803158D D3AD8C10 84426160
	s_cselect_b32 s68, s68, 0                                  // 000000003C14: 85448044
	s_add_u32 s12, s12, s66                                    // 000000003C18: 800C420C
	v_mfma_scale_f32_16x16x128_f8f6f4 a[20:23], v[96:99], v[52:55], a[20:23], v141, v138 op_sel_hi:[0,0,0] cbsz:4 blgp:4// 000000003C1C: D3AC5000 1803158D D3AD8C14 84526960
	s_addc_u32 s13, 0, s13                                     // 000000003C2C: 820D0D80
	buffer_load_dwordx4 v[76:79], v152, s[16:19], 0 offen      // 000000003C30: E05C1000 80044C98
	v_mfma_scale_f32_16x16x128_f8f6f4 a[24:27], v[100:103], v[48:51], a[24:27], v141, v138 op_sel_hi:[0,0,0] cbsz:4 blgp:4// 000000003C38: D3AC6800 1803158D D3AD8C18 84626164
	s_sub_u32 s14, s14, s66                                    // 000000003C48: 808E420E
	s_add_u32 s20, s20, s68                                    // 000000003C4C: 80144414
	v_mfma_scale_f32_16x16x128_f8f6f4 a[28:31], v[100:103], v[52:55], a[28:31], v141, v138 op_sel_hi:[0,0,0] cbsz:4 blgp:4// 000000003C50: D3AC5800 1803158D D3AD8C1C 84726964
	s_addc_u32 s21, 0, s21                                     // 000000003C60: 82151580
	buffer_load_dwordx4 v[80:83], v151, s[16:19], 0 offen offset:1024// 000000003C64: E05C1400 80045097
	s_sub_u32 s22, s22, s68                                    // 000000003C6C: 80964416
	buffer_load_dwordx4 v[84:87], v152, s[16:19], 0 offen offset:1024// 000000003C70: E05C1400 80045498
	buffer_load_dword v140, v159, s[24:27], 0 offen            // 000000003C78: E0501000 80068C9F
	s_waitcnt vmcnt(12)                                        // 000000003C80: BF8C0F7C
	v_mfma_scale_f32_16x16x128_f8f6f4 a[32:35], v[104:107], v[40:43], a[32:35], v142, v138 op_sel_hi:[0,0,0] cbsz:4 blgp:4// 000000003C84: D3AC6000 0003158E D3AD8C20 84825168
	v_mfma_scale_f32_16x16x128_f8f6f4 a[36:39], v[104:107], v[44:47], a[36:39], v142, v138 op_sel_hi:[0,0,0] cbsz:4 blgp:4// 000000003C94: D3AC5000 0003158E D3AD8C24 84925968
	buffer_load_dwordx4 v[88:91], v153, s[16:19], 0 offen      // 000000003CA4: E05C1000 80045899
	v_mfma_scale_f32_16x16x128_f8f6f4 a[40:43], v[108:111], v[40:43], a[40:43], v142, v138 op_sel_hi:[0,0,0] cbsz:4 blgp:4// 000000003CAC: D3AC6800 0003158E D3AD8C28 84A2516C
	v_mfma_scale_f32_16x16x128_f8f6f4 a[44:47], v[108:111], v[44:47], a[44:47], v142, v138 op_sel_hi:[0,0,0] cbsz:4 blgp:4// 000000003CBC: D3AC5800 0003158E D3AD8C2C 84B2596C
	buffer_load_dwordx4 v[92:95], v154, s[16:19], 0 offen      // 000000003CCC: E05C1000 80045C9A
	v_mfma_scale_f32_16x16x128_f8f6f4 a[32:35], v[112:115], v[48:51], a[32:35], v142, v138 op_sel_hi:[0,0,0] cbsz:4 blgp:4// 000000003CD4: D3AC6000 1803158E D3AD8C20 84826170
	v_mfma_scale_f32_16x16x128_f8f6f4 a[36:39], v[112:115], v[52:55], a[36:39], v142, v138 op_sel_hi:[0,0,0] cbsz:4 blgp:4// 000000003CE4: D3AC7000 1803158E D3AD8C24 84926970
	buffer_load_dwordx4 v[96:99], v153, s[16:19], 0 offen offset:1024// 000000003CF4: E05C1400 80046099
	v_mfma_scale_f32_16x16x128_f8f6f4 a[40:43], v[116:119], v[48:51], a[40:43], v142, v138 op_sel_hi:[0,0,0] cbsz:4 blgp:4// 000000003CFC: D3AC6800 1803158E D3AD8C28 84A26174
	v_mfma_scale_f32_16x16x128_f8f6f4 a[44:47], v[116:119], v[52:55], a[44:47], v142, v138 op_sel_hi:[0,0,0] cbsz:4 blgp:4// 000000003D0C: D3AC5800 1803158E D3AD8C2C 84B26974
	buffer_load_dwordx4 v[100:103], v154, s[16:19], 0 offen offset:1024// 000000003D1C: E05C1400 8004649A
	buffer_load_dword v141, v160, s[24:27], 0 offen            // 000000003D24: E0501000 80068DA0
	s_waitcnt vmcnt(10)                                        // 000000003D2C: BF8C0F7A
	s_barrier                                                  // 000000003D30: BF8A0000
	v_mfma_scale_f32_16x16x128_f8f6f4 a[48:51], v[120:123], v[40:43], a[48:51], v143, v138 op_sel_hi:[0,0,0] cbsz:4 blgp:4// 000000003D34: D3AC6000 0003158F D3AD8C30 84C25178
	s_addk_i32 s60, 0x100                                      // 000000003D44: B73C0100
	ds_read_b128 v[8:11], v145                                 // 000000003D48: D9FE0000 08000091
	v_mfma_scale_f32_16x16x128_f8f6f4 a[52:55], v[120:123], v[44:47], a[52:55], v143, v138 op_sel_hi:[0,0,0] cbsz:4 blgp:4// 000000003D50: D3AC3000 0003158F D3AD8C34 84D25978
	s_cmp_lt_i32 s60, s61                                      // 000000003D60: BF043D3C
	buffer_load_dwordx4 v[104:107], v155, s[16:19], 0 offen    // 000000003D64: E05C1000 8004689B
	v_mfma_scale_f32_16x16x128_f8f6f4 a[56:59], v[124:127], v[40:43], a[56:59], v143, v138 op_sel_hi:[0,0,0] cbsz:4 blgp:4// 000000003D6C: D3AC6800 0003158F D3AD8C38 84E2517C
	ds_read_b128 v[16:19], v145 offset:64                      // 000000003D7C: D9FE0040 10000091
	v_mfma_scale_f32_16x16x128_f8f6f4 a[60:63], v[124:127], v[44:47], a[60:63], v143, v138 op_sel_hi:[0,0,0] cbsz:4 blgp:4// 000000003D84: D3AC7800 0003158F D3AD8C3C 84F2597C
	buffer_load_dwordx4 v[108:111], v156, s[16:19], 0 offen    // 000000003D94: E05C1000 80046C9C
	v_mfma_scale_f32_16x16x128_f8f6f4 a[48:51], v[128:131], v[48:51], a[48:51], v143, v138 op_sel_hi:[0,0,0] cbsz:4 blgp:4// 000000003D9C: D3AC6000 1803158F D3AD8C30 84C26180
	ds_read_b128 v[12:15], v145 offset:512                     // 000000003DAC: D9FE0200 0C000091
	v_mfma_scale_f32_16x16x128_f8f6f4 a[52:55], v[128:131], v[52:55], a[52:55], v143, v138 op_sel_hi:[0,0,0] cbsz:4 blgp:4// 000000003DB4: D3AC7000 1803158F D3AD8C34 84D26980
	buffer_load_dwordx4 v[112:115], v155, s[16:19], 0 offen offset:1024// 000000003DC4: E05C1400 8004709B
	v_mfma_scale_f32_16x16x128_f8f6f4 a[56:59], v[132:135], v[48:51], a[56:59], v143, v138 op_sel_hi:[0,0,0] cbsz:4 blgp:4// 000000003DCC: D3AC6800 1803158F D3AD8C38 84E26184
	ds_read_b128 v[20:23], v145 offset:576                     // 000000003DDC: D9FE0240 14000091
	v_mfma_scale_f32_16x16x128_f8f6f4 a[60:63], v[132:135], v[52:55], a[60:63], v143, v138 op_sel_hi:[0,0,0] cbsz:4 blgp:4// 000000003DE4: D3AC7800 1803158F D3AD8C3C 84F26984
	buffer_load_dwordx4 v[116:119], v156, s[16:19], 0 offen offset:1024// 000000003DF4: E05C1400 8004749C
	ds_read_b32 v136, v150                                     // 000000003DFC: D86C0000 88000096
	buffer_load_dword v142, v161, s[24:27], 0 offen            // 000000003E04: E0501000 80068EA1
	s_cbranch_scc0 label_08BC                                  // 000000003E0C: BF840438
	s_waitcnt vmcnt(10) lgkmcnt(5)                             // 000000003E10: BF8C057A
	v_mfma_scale_f32_16x16x128_f8f6f4 a[0:3], v[72:75], v[56:59], a[0:3], v140, v139 op_sel_hi:[0,0,0] cbsz:4 blgp:4// 000000003E14: D3AC6000 0003178C D3AD8C00 84027148
	s_add_u32 s63, 0x100, s60                                  // 000000003E24: 803F3CFF 00000100
	s_cmp_lt_u32 s63, s61                                      // 000000003E2C: BF0A3D3F
	v_mfma_scale_f32_16x16x128_f8f6f4 a[4:7], v[72:75], v[60:63], a[4:7], v140, v139 op_sel_hi:[0,0,0] cbsz:4 blgp:4// 000000003E30: D3AC5000 0003178C D3AD8C04 84127948
	s_cselect_b32 s67, s67, 0                                  // 000000003E40: 85438043
	buffer_load_dwordx4 v[120:123], v157, s[16:19], 0 offen    // 000000003E44: E05C1000 8004789D
	v_mfma_scale_f32_16x16x128_f8f6f4 a[8:11], v[76:79], v[56:59], a[8:11], v140, v139 op_sel_hi:[0,0,0] cbsz:4 blgp:4// 000000003E4C: D3AC6800 0003178C D3AD8C08 8422714C
	s_cselect_b32 s69, s69, 0                                  // 000000003E5C: 85458045
	v_mfma_scale_f32_16x16x128_f8f6f4 a[12:15], v[76:79], v[60:63], a[12:15], v140, v139 op_sel_hi:[0,0,0] cbsz:4 blgp:4// 000000003E60: D3AC7800 0003178C D3AD8C0C 8432794C
	buffer_load_dwordx4 v[124:127], v158, s[16:19], 0 offen    // 000000003E70: E05C1000 80047C9E
	v_mfma_scale_f32_16x16x128_f8f6f4 a[0:3], v[80:83], v[64:67], a[0:3], v140, v139 op_sel_hi:[0,0,0] cbsz:4 blgp:4// 000000003E78: D3AC6000 1803178C D3AD8C00 84028150
	v_mfma_scale_f32_16x16x128_f8f6f4 a[4:7], v[80:83], v[68:71], a[4:7], v140, v139 op_sel_hi:[0,0,0] cbsz:4 blgp:4// 000000003E88: D3AC7000 1803178C D3AD8C04 84128950
	buffer_load_dwordx4 v[128:131], v157, s[16:19], 0 offen offset:1024// 000000003E98: E05C1400 8004809D
	v_mfma_scale_f32_16x16x128_f8f6f4 a[8:11], v[84:87], v[64:67], a[8:11], v140, v139 op_sel_hi:[0,0,0] cbsz:4 blgp:4// 000000003EA0: D3AC6800 1803178C D3AD8C08 84228154
	v_mfma_scale_f32_16x16x128_f8f6f4 a[12:15], v[84:87], v[68:71], a[12:15], v140, v139 op_sel_hi:[0,0,0] cbsz:4 blgp:4// 000000003EB0: D3AC7800 1803178C D3AD8C0C 84328954
	buffer_load_dwordx4 v[132:135], v158, s[16:19], 0 offen offset:1024// 000000003EC0: E05C1400 8004849E
	buffer_load_dword v143, v162, s[24:27], 0 offen            // 000000003EC8: E0501000 80068FA2
	s_add_u32 s16, s16, s67                                    // 000000003ED0: 80104310
	s_addc_u32 s17, 0, s17                                     // 000000003ED4: 82111180
	s_sub_u32 s18, s18, s67                                    // 000000003ED8: 80924312
	s_add_u32 s24, s24, s69                                    // 000000003EDC: 80184518
	s_addc_u32 s25, 0, s25                                     // 000000003EE0: 82191980
	s_sub_u32 s26, s26, s69                                    // 000000003EE4: 809A451A
	s_add_u32 m0, 0x400, s65                                   // 000000003EE8: 807C41FF 00000400
	buffer_load_dword v149, s[20:23], 0 offen lds              // 000000003EF0: E0511000 80050095
	s_waitcnt vmcnt(11)                                        // 000000003EF8: BF8C0F7B
	v_mfma_scale_f32_16x16x128_f8f6f4 a[16:19], v[88:91], v[56:59], a[16:19], v141, v139 op_sel_hi:[0,0,0] cbsz:4 blgp:4// 000000003EFC: D3AC6000 0003178D D3AD8C10 84427158
	v_mfma_scale_f32_16x16x128_f8f6f4 a[20:23], v[88:91], v[60:63], a[20:23], v141, v139 op_sel_hi:[0,0,0] cbsz:4 blgp:4// 000000003F0C: D3AC7000 0003178D D3AD8C14 84527958
	s_add_u32 m0, 0x1080, s64                                  // 000000003F1C: 807C40FF 00001080
	buffer_load_dwordx4 v144, s[12:15], 0 offen lds            // 000000003F24: E05D1000 80030090
	v_mfma_scale_f32_16x16x128_f8f6f4 a[24:27], v[92:95], v[56:59], a[24:27], v141, v139 op_sel_hi:[0,0,0] cbsz:4 blgp:4// 000000003F2C: D3AC6800 0003178D D3AD8C18 8462715C
	s_add_u32 s62, 0x300, s60                                  // 000000003F3C: 803E3CFF 00000300
	s_cmp_lt_u32 s62, s61                                      // 000000003F44: BF0A3D3E
	v_mfma_scale_f32_16x16x128_f8f6f4 a[28:31], v[92:95], v[60:63], a[28:31], v141, v139 op_sel_hi:[0,0,0] cbsz:4 blgp:4// 000000003F48: D3AC7800 0003178D D3AD8C1C 8472795C
	s_cselect_b32 s66, s66, 0                                  // 000000003F58: 85428042
	buffer_load_dwordx4 v[72:75], v151, s[16:19], 0 offen      // 000000003F5C: E05C1000 80044897
	v_mfma_scale_f32_16x16x128_f8f6f4 a[16:19], v[96:99], v[64:67], a[16:19], v141, v139 op_sel_hi:[0,0,0] cbsz:4 blgp:4// 000000003F64: D3AC6000 1803178D D3AD8C10 84428160
	s_cselect_b32 s68, s68, 0                                  // 000000003F74: 85448044
	s_add_u32 s12, s12, s66                                    // 000000003F78: 800C420C
	v_mfma_scale_f32_16x16x128_f8f6f4 a[20:23], v[96:99], v[68:71], a[20:23], v141, v139 op_sel_hi:[0,0,0] cbsz:4 blgp:4// 000000003F7C: D3AC7000 1803178D D3AD8C14 84528960
	s_addc_u32 s13, 0, s13                                     // 000000003F8C: 820D0D80
	buffer_load_dwordx4 v[76:79], v152, s[16:19], 0 offen      // 000000003F90: E05C1000 80044C98
	v_mfma_scale_f32_16x16x128_f8f6f4 a[24:27], v[100:103], v[64:67], a[24:27], v141, v139 op_sel_hi:[0,0,0] cbsz:4 blgp:4// 000000003F98: D3AC6800 1803178D D3AD8C18 84628164
	s_sub_u32 s14, s14, s66                                    // 000000003FA8: 808E420E
	s_add_u32 s20, s20, s68                                    // 000000003FAC: 80144414
	v_mfma_scale_f32_16x16x128_f8f6f4 a[28:31], v[100:103], v[68:71], a[28:31], v141, v139 op_sel_hi:[0,0,0] cbsz:4 blgp:4// 000000003FB0: D3AC1800 1803178D D3AD8C1C 84728964
	s_addc_u32 s21, 0, s21                                     // 000000003FC0: 82151580
	buffer_load_dwordx4 v[80:83], v151, s[16:19], 0 offen offset:1024// 000000003FC4: E05C1400 80045097
	s_sub_u32 s22, s22, s68                                    // 000000003FCC: 80964416
	buffer_load_dwordx4 v[84:87], v152, s[16:19], 0 offen offset:1024// 000000003FD0: E05C1400 80045498
	buffer_load_dword v140, v159, s[24:27], 0 offen            // 000000003FD8: E0501000 80068C9F
	s_waitcnt vmcnt(12)                                        // 000000003FE0: BF8C0F7C
	v_mfma_scale_f32_16x16x128_f8f6f4 a[32:35], v[104:107], v[56:59], a[32:35], v142, v139 op_sel_hi:[0,0,0] cbsz:4 blgp:4// 000000003FE4: D3AC6000 0003178E D3AD8C20 84827168
	v_mfma_scale_f32_16x16x128_f8f6f4 a[36:39], v[104:107], v[60:63], a[36:39], v142, v139 op_sel_hi:[0,0,0] cbsz:4 blgp:4// 000000003FF4: D3AC7000 0003178E D3AD8C24 84927968
	buffer_load_dwordx4 v[88:91], v153, s[16:19], 0 offen      // 000000004004: E05C1000 80045899
	v_mfma_scale_f32_16x16x128_f8f6f4 a[40:43], v[108:111], v[56:59], a[40:43], v142, v139 op_sel_hi:[0,0,0] cbsz:4 blgp:4// 00000000400C: D3AC6800 0003178E D3AD8C28 84A2716C
	v_mfma_scale_f32_16x16x128_f8f6f4 a[44:47], v[108:111], v[60:63], a[44:47], v142, v139 op_sel_hi:[0,0,0] cbsz:4 blgp:4// 00000000401C: D3AC7800 0003178E D3AD8C2C 84B2796C
	buffer_load_dwordx4 v[92:95], v154, s[16:19], 0 offen      // 00000000402C: E05C1000 80045C9A
	v_mfma_scale_f32_16x16x128_f8f6f4 a[32:35], v[112:115], v[64:67], a[32:35], v142, v139 op_sel_hi:[0,0,0] cbsz:4 blgp:4// 000000004034: D3AC6000 1803178E D3AD8C20 84828170
	v_mfma_scale_f32_16x16x128_f8f6f4 a[36:39], v[112:115], v[68:71], a[36:39], v142, v139 op_sel_hi:[0,0,0] cbsz:4 blgp:4// 000000004044: D3AC7000 1803178E D3AD8C24 84928970
	buffer_load_dwordx4 v[96:99], v153, s[16:19], 0 offen offset:1024// 000000004054: E05C1400 80046099
	v_mfma_scale_f32_16x16x128_f8f6f4 a[40:43], v[116:119], v[64:67], a[40:43], v142, v139 op_sel_hi:[0,0,0] cbsz:4 blgp:4// 00000000405C: D3AC6800 1803178E D3AD8C28 84A28174
	v_mfma_scale_f32_16x16x128_f8f6f4 a[44:47], v[116:119], v[68:71], a[44:47], v142, v139 op_sel_hi:[0,0,0] cbsz:4 blgp:4// 00000000406C: D3AC7800 1803178E D3AD8C2C 84B28974
	buffer_load_dwordx4 v[100:103], v154, s[16:19], 0 offen offset:1024// 00000000407C: E05C1400 8004649A
	buffer_load_dword v141, v160, s[24:27], 0 offen            // 000000004084: E0501000 80068DA0
	s_waitcnt vmcnt(10)                                        // 00000000408C: BF8C0F7A
	s_barrier                                                  // 000000004090: BF8A0000
	v_mfma_scale_f32_16x16x128_f8f6f4 a[48:51], v[120:123], v[56:59], a[48:51], v143, v139 op_sel_hi:[0,0,0] cbsz:4 blgp:4// 000000004094: D3AC6000 0003178F D3AD8C30 84C27178
	s_addk_i32 s60, 0x100                                      // 0000000040A4: B73C0100
	ds_read_b128 v[24:27], v146                                // 0000000040A8: D9FE0000 18000092
	v_mfma_scale_f32_16x16x128_f8f6f4 a[52:55], v[120:123], v[60:63], a[52:55], v143, v139 op_sel_hi:[0,0,0] cbsz:4 blgp:4// 0000000040B0: D3AC7000 0003178F D3AD8C34 84D27978
	s_cmp_lt_i32 s60, s61                                      // 0000000040C0: BF043D3C
	buffer_load_dwordx4 v[104:107], v155, s[16:19], 0 offen    // 0000000040C4: E05C1000 8004689B
	v_mfma_scale_f32_16x16x128_f8f6f4 a[56:59], v[124:127], v[56:59], a[56:59], v143, v139 op_sel_hi:[0,0,0] cbsz:4 blgp:4// 0000000040CC: D3AC6800 0003178F D3AD8C38 84E2717C
	ds_read_b128 v[32:35], v146 offset:64                      // 0000000040DC: D9FE0040 20000092
	v_mfma_scale_f32_16x16x128_f8f6f4 a[60:63], v[124:127], v[60:63], a[60:63], v143, v139 op_sel_hi:[0,0,0] cbsz:4 blgp:4// 0000000040E4: D3AC7800 0003178F D3AD8C3C 84F2797C
	buffer_load_dwordx4 v[108:111], v156, s[16:19], 0 offen    // 0000000040F4: E05C1000 80046C9C
	v_mfma_scale_f32_16x16x128_f8f6f4 a[48:51], v[128:131], v[64:67], a[48:51], v143, v139 op_sel_hi:[0,0,0] cbsz:4 blgp:4// 0000000040FC: D3AC6000 1803178F D3AD8C30 84C28180
	ds_read_b128 v[28:31], v146 offset:512                     // 00000000410C: D9FE0200 1C000092
	v_mfma_scale_f32_16x16x128_f8f6f4 a[52:55], v[128:131], v[68:71], a[52:55], v143, v139 op_sel_hi:[0,0,0] cbsz:4 blgp:4// 000000004114: D3AC7000 1803178F D3AD8C34 84D28980
	buffer_load_dwordx4 v[112:115], v155, s[16:19], 0 offen offset:1024// 000000004124: E05C1400 8004709B
	v_mfma_scale_f32_16x16x128_f8f6f4 a[56:59], v[132:135], v[64:67], a[56:59], v143, v139 op_sel_hi:[0,0,0] cbsz:4 blgp:4// 00000000412C: D3AC6800 1803178F D3AD8C38 84E28184
	ds_read_b128 v[36:39], v146 offset:576                     // 00000000413C: D9FE0240 24000092
	v_mfma_scale_f32_16x16x128_f8f6f4 a[60:63], v[132:135], v[68:71], a[60:63], v143, v139 op_sel_hi:[0,0,0] cbsz:4 blgp:4// 000000004144: D3AC7800 1803178F D3AD8C3C 84F28984
	buffer_load_dwordx4 v[116:119], v156, s[16:19], 0 offen offset:1024// 000000004154: E05C1400 8004749C
	ds_read_b32 v137, v150 offset:1024                         // 00000000415C: D86C0400 89000096
	buffer_load_dword v142, v161, s[24:27], 0 offen            // 000000004164: E0501000 80068EA1
	s_cbranch_scc0 label_08BC                                  // 00000000416C: BF840360
	s_branch label_01FE                                        // 000000004170: BF82FCA1

0000000000004174 <label_055D>:
	s_waitcnt vmcnt(10) lgkmcnt(5)                             // 000000004174: BF8C057A
	v_mfma_scale_f32_16x16x128_f8f6f4 a[0:3], v[72:75], v[8:11], a[0:3], v140, v136 op_sel_hi:[0,0,0] cbsz:4 blgp:4// 000000004178: D3AC6000 0003118C D3AD8C00 84021148
	s_add_u32 s63, 0x100, s60                                  // 000000004188: 803F3CFF 00000100
	buffer_load_dwordx4 v[120:123], v157, s[16:19], 0 offen    // 000000004190: E05C1000 8004789D
	v_mfma_scale_f32_16x16x128_f8f6f4 a[4:7], v[72:75], v[12:15], a[4:7], v140, v136 op_sel_hi:[0,0,0] cbsz:4 blgp:4// 000000004198: D3AC7000 0003118C D3AD8C04 84121948
	s_cmp_lt_u32 s63, s61                                      // 0000000041A8: BF0A3D3F
	s_cselect_b32 s67, s67, 0                                  // 0000000041AC: 85438043
	v_mfma_scale_f32_16x16x128_f8f6f4 a[8:11], v[76:79], v[8:11], a[8:11], v140, v136 op_sel_hi:[0,0,0] cbsz:4 blgp:4// 0000000041B0: D3AC6800 0003118C D3AD8C08 8422114C
	s_cselect_b32 s69, s69, 0                                  // 0000000041C0: 85458045
	buffer_load_dwordx4 v[124:127], v158, s[16:19], 0 offen    // 0000000041C4: E05C1000 80047C9E
	v_mfma_scale_f32_16x16x128_f8f6f4 a[12:15], v[76:79], v[12:15], a[12:15], v140, v136 op_sel_hi:[0,0,0] cbsz:4 blgp:4// 0000000041CC: D3AC7800 0003118C D3AD8C0C 8432194C
	v_mfma_scale_f32_16x16x128_f8f6f4 a[0:3], v[80:83], v[16:19], a[0:3], v140, v136 op_sel_hi:[0,0,0] cbsz:4 blgp:4// 0000000041DC: D3AC6000 1803118C D3AD8C00 84022150
	buffer_load_dwordx4 v[128:131], v157, s[16:19], 0 offen offset:1024// 0000000041EC: E05C1400 8004809D
	v_mfma_scale_f32_16x16x128_f8f6f4 a[4:7], v[80:83], v[20:23], a[4:7], v140, v136 op_sel_hi:[0,0,0] cbsz:4 blgp:4// 0000000041F4: D3AC7000 1803118C D3AD8C04 84122950
	v_mfma_scale_f32_16x16x128_f8f6f4 a[8:11], v[84:87], v[16:19], a[8:11], v140, v136 op_sel_hi:[0,0,0] cbsz:4 blgp:4// 000000004204: D3AC6800 1803118C D3AD8C08 84222154
	buffer_load_dwordx4 v[132:135], v158, s[16:19], 0 offen offset:1024// 000000004214: E05C1400 8004849E
	v_mfma_scale_f32_16x16x128_f8f6f4 a[12:15], v[84:87], v[20:23], a[12:15], v140, v136 op_sel_hi:[0,0,0] cbsz:4 blgp:4// 00000000421C: D3AC7800 1803118C D3AD8C0C 84322954
	buffer_load_dword v143, v162, s[24:27], 0 offen            // 00000000422C: E0501000 80068FA2
	s_add_u32 s16, s16, s67                                    // 000000004234: 80104310
	s_addc_u32 s17, 0, s17                                     // 000000004238: 82111180
	s_sub_u32 s18, s18, s67                                    // 00000000423C: 80924312
	s_add_u32 s24, s24, s69                                    // 000000004240: 80184518
	s_addc_u32 s25, 0, s25                                     // 000000004244: 82191980
	s_sub_u32 s26, s26, s69                                    // 000000004248: 809A451A
	s_add_u32 m0, 0x800, s65                                   // 00000000424C: 807C41FF 00000800
	buffer_load_dword v149, s[20:23], 0 offen lds              // 000000004254: E0511000 80050095
	s_waitcnt vmcnt(11)                                        // 00000000425C: BF8C0F7B
	v_mfma_scale_f32_16x16x128_f8f6f4 a[16:19], v[88:91], v[8:11], a[16:19], v141, v136 op_sel_hi:[0,0,0] cbsz:4 blgp:4// 000000004260: D3AC6000 0003118D D3AD8C10 84421158
	s_add_u32 m0, 0x2100, s64                                  // 000000004270: 807C40FF 00002100
	buffer_load_dwordx4 v144, s[12:15], 0 offen lds            // 000000004278: E05D1000 80030090
	v_mfma_scale_f32_16x16x128_f8f6f4 a[20:23], v[88:91], v[12:15], a[20:23], v141, v136 op_sel_hi:[0,0,0] cbsz:4 blgp:4// 000000004280: D3AC7000 0003118D D3AD8C14 84521958
	s_add_u32 s62, 0x300, s60                                  // 000000004290: 803E3CFF 00000300
	s_cmp_lt_u32 s62, s61                                      // 000000004298: BF0A3D3E
	v_mfma_scale_f32_16x16x128_f8f6f4 a[24:27], v[92:95], v[8:11], a[24:27], v141, v136 op_sel_hi:[0,0,0] cbsz:4 blgp:4// 00000000429C: D3AC6800 0003118D D3AD8C18 8462115C
	s_cselect_b32 s66, s66, 0                                  // 0000000042AC: 85428042
	buffer_load_dwordx4 v[72:75], v151, s[16:19], 0 offen      // 0000000042B0: E05C1000 80044897
	v_mfma_scale_f32_16x16x128_f8f6f4 a[28:31], v[92:95], v[12:15], a[28:31], v141, v136 op_sel_hi:[0,0,0] cbsz:4 blgp:4// 0000000042B8: D3AC7800 0003118D D3AD8C1C 8472195C
	s_cselect_b32 s68, s68, 0                                  // 0000000042C8: 85448044
	s_add_u32 s12, s12, s66                                    // 0000000042CC: 800C420C
	v_mfma_scale_f32_16x16x128_f8f6f4 a[16:19], v[96:99], v[16:19], a[16:19], v141, v136 op_sel_hi:[0,0,0] cbsz:4 blgp:4// 0000000042D0: D3AC6000 1803118D D3AD8C10 84422160
	s_addc_u32 s13, 0, s13                                     // 0000000042E0: 820D0D80
	buffer_load_dwordx4 v[76:79], v152, s[16:19], 0 offen      // 0000000042E4: E05C1000 80044C98
	v_mfma_scale_f32_16x16x128_f8f6f4 a[20:23], v[96:99], v[20:23], a[20:23], v141, v136 op_sel_hi:[0,0,0] cbsz:4 blgp:4// 0000000042EC: D3AC7000 1803118D D3AD8C14 84522960
	s_sub_u32 s14, s14, s66                                    // 0000000042FC: 808E420E
	s_add_u32 s20, s20, s68                                    // 000000004300: 80144414
	v_mfma_scale_f32_16x16x128_f8f6f4 a[24:27], v[100:103], v[16:19], a[24:27], v141, v136 op_sel_hi:[0,0,0] cbsz:4 blgp:4// 000000004304: D3AC6800 1803118D D3AD8C18 84622164
	s_addc_u32 s21, 0, s21                                     // 000000004314: 82151580
	buffer_load_dwordx4 v[80:83], v151, s[16:19], 0 offen offset:1024// 000000004318: E05C1400 80045097
	v_mfma_scale_f32_16x16x128_f8f6f4 a[28:31], v[100:103], v[20:23], a[28:31], v141, v136 op_sel_hi:[0,0,0] cbsz:4 blgp:4// 000000004320: D3AC7800 1803118D D3AD8C1C 84722964
	s_sub_u32 s22, s22, s68                                    // 000000004330: 80964416
	buffer_load_dwordx4 v[84:87], v152, s[16:19], 0 offen offset:1024// 000000004334: E05C1400 80045498
	buffer_load_dword v140, v159, s[24:27], 0 offen            // 00000000433C: E0501000 80068C9F
	s_waitcnt vmcnt(12)                                        // 000000004344: BF8C0F7C
	v_mfma_scale_f32_16x16x128_f8f6f4 a[32:35], v[104:107], v[8:11], a[32:35], v142, v136 op_sel_hi:[0,0,0] cbsz:4 blgp:4// 000000004348: D3AC6000 0003118E D3AD8C20 84821168
	buffer_load_dwordx4 v[88:91], v153, s[16:19], 0 offen      // 000000004358: E05C1000 80045899
	v_mfma_scale_f32_16x16x128_f8f6f4 a[36:39], v[104:107], v[12:15], a[36:39], v142, v136 op_sel_hi:[0,0,0] cbsz:4 blgp:4// 000000004360: D3AC7000 0003118E D3AD8C24 84921968
	v_mfma_scale_f32_16x16x128_f8f6f4 a[40:43], v[108:111], v[8:11], a[40:43], v142, v136 op_sel_hi:[0,0,0] cbsz:4 blgp:4// 000000004370: D3AC6800 0003118E D3AD8C28 84A2116C
	buffer_load_dwordx4 v[92:95], v154, s[16:19], 0 offen      // 000000004380: E05C1000 80045C9A
	v_mfma_scale_f32_16x16x128_f8f6f4 a[44:47], v[108:111], v[12:15], a[44:47], v142, v136 op_sel_hi:[0,0,0] cbsz:4 blgp:4// 000000004388: D3AC7800 0003118E D3AD8C2C 84B2196C
	v_mfma_scale_f32_16x16x128_f8f6f4 a[32:35], v[112:115], v[16:19], a[32:35], v142, v136 op_sel_hi:[0,0,0] cbsz:4 blgp:4// 000000004398: D3AC6000 1803118E D3AD8C20 84822170
	buffer_load_dwordx4 v[96:99], v153, s[16:19], 0 offen offset:1024// 0000000043A8: E05C1400 80046099
	v_mfma_scale_f32_16x16x128_f8f6f4 a[36:39], v[112:115], v[20:23], a[36:39], v142, v136 op_sel_hi:[0,0,0] cbsz:4 blgp:4// 0000000043B0: D3AC7000 1803118E D3AD8C24 84922970
	v_mfma_scale_f32_16x16x128_f8f6f4 a[40:43], v[116:119], v[16:19], a[40:43], v142, v136 op_sel_hi:[0,0,0] cbsz:4 blgp:4// 0000000043C0: D3AC6800 1803118E D3AD8C28 84A22174
	buffer_load_dwordx4 v[100:103], v154, s[16:19], 0 offen offset:1024// 0000000043D0: E05C1400 8004649A
	v_mfma_scale_f32_16x16x128_f8f6f4 a[44:47], v[116:119], v[20:23], a[44:47], v142, v136 op_sel_hi:[0,0,0] cbsz:4 blgp:4// 0000000043D8: D3AC7800 1803118E D3AD8C2C 84B22974
	buffer_load_dword v141, v160, s[24:27], 0 offen            // 0000000043E8: E0501000 80068DA0
	s_waitcnt vmcnt(10)                                        // 0000000043F0: BF8C0F7A
	s_barrier                                                  // 0000000043F4: BF8A0000
	v_mfma_scale_f32_16x16x128_f8f6f4 a[48:51], v[120:123], v[8:11], a[48:51], v143, v136 op_sel_hi:[0,0,0] cbsz:4 blgp:4// 0000000043F8: D3AC6000 0003118F D3AD8C30 84C21178
	s_addk_i32 s60, 0x100                                      // 000000004408: B73C0100
	buffer_load_dwordx4 v[104:107], v155, s[16:19], 0 offen    // 00000000440C: E05C1000 8004689B
	v_mfma_scale_f32_16x16x128_f8f6f4 a[52:55], v[120:123], v[12:15], a[52:55], v143, v136 op_sel_hi:[0,0,0] cbsz:4 blgp:4// 000000004414: D3AC7000 0003118F D3AD8C34 84D21978
	s_cmp_lt_i32 s60, s61                                      // 000000004424: BF043D3C
	ds_read_b128 v[40:43], v147                                // 000000004428: D9FE0000 28000093
	v_mfma_scale_f32_16x16x128_f8f6f4 a[56:59], v[124:127], v[8:11], a[56:59], v143, v136 op_sel_hi:[0,0,0] cbsz:4 blgp:4// 000000004430: D3AC6800 0003118F D3AD8C38 84E2117C
	buffer_load_dwordx4 v[108:111], v156, s[16:19], 0 offen    // 000000004440: E05C1000 80046C9C
	v_mfma_scale_f32_16x16x128_f8f6f4 a[60:63], v[124:127], v[12:15], a[60:63], v143, v136 op_sel_hi:[0,0,0] cbsz:4 blgp:4// 000000004448: D3AC7800 0003118F D3AD8C3C 84F2197C
	ds_read_b128 v[48:51], v147 offset:64                      // 000000004458: D9FE0040 30000093
	v_mfma_scale_f32_16x16x128_f8f6f4 a[48:51], v[128:131], v[16:19], a[48:51], v143, v136 op_sel_hi:[0,0,0] cbsz:4 blgp:4// 000000004460: D3AC6000 1803118F D3AD8C30 84C22180
	buffer_load_dwordx4 v[112:115], v155, s[16:19], 0 offen offset:1024// 000000004470: E05C1400 8004709B
	v_mfma_scale_f32_16x16x128_f8f6f4 a[52:55], v[128:131], v[20:23], a[52:55], v143, v136 op_sel_hi:[0,0,0] cbsz:4 blgp:4// 000000004478: D3AC7000 1803118F D3AD8C34 84D22980
	ds_read_b128 v[44:47], v147 offset:512                     // 000000004488: D9FE0200 2C000093
	v_mfma_scale_f32_16x16x128_f8f6f4 a[56:59], v[132:135], v[16:19], a[56:59], v143, v136 op_sel_hi:[0,0,0] cbsz:4 blgp:4// 000000004490: D3AC6800 1803118F D3AD8C38 84E22184
	buffer_load_dwordx4 v[116:119], v156, s[16:19], 0 offen offset:1024// 0000000044A0: E05C1400 8004749C
	v_mfma_scale_f32_16x16x128_f8f6f4 a[60:63], v[132:135], v[20:23], a[60:63], v143, v136 op_sel_hi:[0,0,0] cbsz:4 blgp:4// 0000000044A8: D3AC7800 1803118F D3AD8C3C 84F22984
	ds_read_b128 v[52:55], v147 offset:576                     // 0000000044B8: D9FE0240 34000093
	ds_read_b32 v138, v150 offset:2048                         // 0000000044C0: D86C0800 8A000096
	buffer_load_dword v142, v161, s[24:27], 0 offen            // 0000000044C8: E0501000 80068EA1
	s_cbranch_scc0 label_08BC                                  // 0000000044D0: BF840287
	s_waitcnt vmcnt(10) lgkmcnt(5)                             // 0000000044D4: BF8C057A
	v_mfma_scale_f32_16x16x128_f8f6f4 a[0:3], v[72:75], v[24:27], a[0:3], v140, v137 op_sel_hi:[0,0,0] cbsz:4 blgp:4// 0000000044D8: D3AC6000 0003138C D3AD8C00 84023148
	s_add_u32 s63, 0x100, s60                                  // 0000000044E8: 803F3CFF 00000100
	buffer_load_dwordx4 v[120:123], v157, s[16:19], 0 offen    // 0000000044F0: E05C1000 8004789D
	v_mfma_scale_f32_16x16x128_f8f6f4 a[4:7], v[72:75], v[28:31], a[4:7], v140, v137 op_sel_hi:[0,0,0] cbsz:4 blgp:4// 0000000044F8: D3AC7000 0003138C D3AD8C04 84123948
	s_cmp_lt_u32 s63, s61                                      // 000000004508: BF0A3D3F
	s_cselect_b32 s67, s67, 0                                  // 00000000450C: 85438043
	v_mfma_scale_f32_16x16x128_f8f6f4 a[8:11], v[76:79], v[24:27], a[8:11], v140, v137 op_sel_hi:[0,0,0] cbsz:4 blgp:4// 000000004510: D3AC6800 0003138C D3AD8C08 8422314C
	s_cselect_b32 s69, s69, 0                                  // 000000004520: 85458045
	buffer_load_dwordx4 v[124:127], v158, s[16:19], 0 offen    // 000000004524: E05C1000 80047C9E
	v_mfma_scale_f32_16x16x128_f8f6f4 a[12:15], v[76:79], v[28:31], a[12:15], v140, v137 op_sel_hi:[0,0,0] cbsz:4 blgp:4// 00000000452C: D3AC7800 0003138C D3AD8C0C 8432394C
	v_mfma_scale_f32_16x16x128_f8f6f4 a[0:3], v[80:83], v[32:35], a[0:3], v140, v137 op_sel_hi:[0,0,0] cbsz:4 blgp:4// 00000000453C: D3AC6000 1803138C D3AD8C00 84024150
	buffer_load_dwordx4 v[128:131], v157, s[16:19], 0 offen offset:1024// 00000000454C: E05C1400 8004809D
	v_mfma_scale_f32_16x16x128_f8f6f4 a[4:7], v[80:83], v[36:39], a[4:7], v140, v137 op_sel_hi:[0,0,0] cbsz:4 blgp:4// 000000004554: D3AC7000 1803138C D3AD8C04 84124950
	v_mfma_scale_f32_16x16x128_f8f6f4 a[8:11], v[84:87], v[32:35], a[8:11], v140, v137 op_sel_hi:[0,0,0] cbsz:4 blgp:4// 000000004564: D3AC6800 1803138C D3AD8C08 84224154
	buffer_load_dwordx4 v[132:135], v158, s[16:19], 0 offen offset:1024// 000000004574: E05C1400 8004849E
	v_mfma_scale_f32_16x16x128_f8f6f4 a[12:15], v[84:87], v[36:39], a[12:15], v140, v137 op_sel_hi:[0,0,0] cbsz:4 blgp:4// 00000000457C: D3AC3800 1803138C D3AD8C0C 84324954
	buffer_load_dword v143, v162, s[24:27], 0 offen            // 00000000458C: E0501000 80068FA2
	s_add_u32 s16, s16, s67                                    // 000000004594: 80104310
	s_addc_u32 s17, 0, s17                                     // 000000004598: 82111180
	s_sub_u32 s18, s18, s67                                    // 00000000459C: 80924312
	s_add_u32 s24, s24, s69                                    // 0000000045A0: 80184518
	s_addc_u32 s25, 0, s25                                     // 0000000045A4: 82191980
	s_sub_u32 s26, s26, s69                                    // 0000000045A8: 809A451A
	s_add_u32 m0, 0xc00, s65                                   // 0000000045AC: 807C41FF 00000C00
	buffer_load_dword v149, s[20:23], 0 offen lds              // 0000000045B4: E0511000 80050095
	s_waitcnt vmcnt(11)                                        // 0000000045BC: BF8C0F7B
	v_mfma_scale_f32_16x16x128_f8f6f4 a[16:19], v[88:91], v[24:27], a[16:19], v141, v137 op_sel_hi:[0,0,0] cbsz:4 blgp:4// 0000000045C0: D3AC6000 0003138D D3AD8C10 84423158
	s_add_u32 m0, 0x3180, s64                                  // 0000000045D0: 807C40FF 00003180
	buffer_load_dwordx4 v144, s[12:15], 0 offen lds            // 0000000045D8: E05D1000 80030090
	v_mfma_scale_f32_16x16x128_f8f6f4 a[20:23], v[88:91], v[28:31], a[20:23], v141, v137 op_sel_hi:[0,0,0] cbsz:4 blgp:4// 0000000045E0: D3AC7000 0003138D D3AD8C14 84523958
	s_add_u32 s62, 0x300, s60                                  // 0000000045F0: 803E3CFF 00000300
	s_cmp_lt_u32 s62, s61                                      // 0000000045F8: BF0A3D3E
	v_mfma_scale_f32_16x16x128_f8f6f4 a[24:27], v[92:95], v[24:27], a[24:27], v141, v137 op_sel_hi:[0,0,0] cbsz:4 blgp:4// 0000000045FC: D3AC6800 0003138D D3AD8C18 8462315C
	s_cselect_b32 s66, s66, 0                                  // 00000000460C: 85428042
	buffer_load_dwordx4 v[72:75], v151, s[16:19], 0 offen      // 000000004610: E05C1000 80044897
	v_mfma_scale_f32_16x16x128_f8f6f4 a[28:31], v[92:95], v[28:31], a[28:31], v141, v137 op_sel_hi:[0,0,0] cbsz:4 blgp:4// 000000004618: D3AC7800 0003138D D3AD8C1C 8472395C
	s_cselect_b32 s68, s68, 0                                  // 000000004628: 85448044
	s_add_u32 s12, s12, s66                                    // 00000000462C: 800C420C
	v_mfma_scale_f32_16x16x128_f8f6f4 a[16:19], v[96:99], v[32:35], a[16:19], v141, v137 op_sel_hi:[0,0,0] cbsz:4 blgp:4// 000000004630: D3AC6000 1803138D D3AD8C10 84424160
	s_addc_u32 s13, 0, s13                                     // 000000004640: 820D0D80
	buffer_load_dwordx4 v[76:79], v152, s[16:19], 0 offen      // 000000004644: E05C1000 80044C98
	v_mfma_scale_f32_16x16x128_f8f6f4 a[20:23], v[96:99], v[36:39], a[20:23], v141, v137 op_sel_hi:[0,0,0] cbsz:4 blgp:4// 00000000464C: D3AC7000 1803138D D3AD8C14 84524960
	s_sub_u32 s14, s14, s66                                    // 00000000465C: 808E420E
	s_add_u32 s20, s20, s68                                    // 000000004660: 80144414
	v_mfma_scale_f32_16x16x128_f8f6f4 a[24:27], v[100:103], v[32:35], a[24:27], v141, v137 op_sel_hi:[0,0,0] cbsz:4 blgp:4// 000000004664: D3AC6800 1803138D D3AD8C18 84624164
	s_addc_u32 s21, 0, s21                                     // 000000004674: 82151580
	buffer_load_dwordx4 v[80:83], v151, s[16:19], 0 offen offset:1024// 000000004678: E05C1400 80045097
	v_mfma_scale_f32_16x16x128_f8f6f4 a[28:31], v[100:103], v[36:39], a[28:31], v141, v137 op_sel_hi:[0,0,0] cbsz:4 blgp:4// 000000004680: D3AC7800 1803138D D3AD8C1C 84724964
	s_sub_u32 s22, s22, s68                                    // 000000004690: 80964416
	buffer_load_dwordx4 v[84:87], v152, s[16:19], 0 offen offset:1024// 000000004694: E05C1400 80045498
	buffer_load_dword v140, v159, s[24:27], 0 offen            // 00000000469C: E0501000 80068C9F
	s_waitcnt vmcnt(12)                                        // 0000000046A4: BF8C0F7C
	v_mfma_scale_f32_16x16x128_f8f6f4 a[32:35], v[104:107], v[24:27], a[32:35], v142, v137 op_sel_hi:[0,0,0] cbsz:4 blgp:4// 0000000046A8: D3AC6000 0003138E D3AD8C20 84823168
	buffer_load_dwordx4 v[88:91], v153, s[16:19], 0 offen      // 0000000046B8: E05C1000 80045899
	v_mfma_scale_f32_16x16x128_f8f6f4 a[36:39], v[104:107], v[28:31], a[36:39], v142, v137 op_sel_hi:[0,0,0] cbsz:4 blgp:4// 0000000046C0: D3AC7000 0003138E D3AD8C24 84923968
	v_mfma_scale_f32_16x16x128_f8f6f4 a[40:43], v[108:111], v[24:27], a[40:43], v142, v137 op_sel_hi:[0,0,0] cbsz:4 blgp:4// 0000000046D0: D3AC6800 0003138E D3AD8C28 84A2316C
	buffer_load_dwordx4 v[92:95], v154, s[16:19], 0 offen      // 0000000046E0: E05C1000 80045C9A
	v_mfma_scale_f32_16x16x128_f8f6f4 a[44:47], v[108:111], v[28:31], a[44:47], v142, v137 op_sel_hi:[0,0,0] cbsz:4 blgp:4// 0000000046E8: D3AC7800 0003138E D3AD8C2C 84B2396C
	v_mfma_scale_f32_16x16x128_f8f6f4 a[32:35], v[112:115], v[32:35], a[32:35], v142, v137 op_sel_hi:[0,0,0] cbsz:4 blgp:4// 0000000046F8: D3AC6000 1803138E D3AD8C20 84824170
	buffer_load_dwordx4 v[96:99], v153, s[16:19], 0 offen offset:1024// 000000004708: E05C1400 80046099
	v_mfma_scale_f32_16x16x128_f8f6f4 a[36:39], v[112:115], v[36:39], a[36:39], v142, v137 op_sel_hi:[0,0,0] cbsz:4 blgp:4// 000000004710: D3AC7000 1803138E D3AD8C24 84924970
	v_mfma_scale_f32_16x16x128_f8f6f4 a[40:43], v[116:119], v[32:35], a[40:43], v142, v137 op_sel_hi:[0,0,0] cbsz:4 blgp:4// 000000004720: D3AC6800 1803138E D3AD8C28 84A24174
	buffer_load_dwordx4 v[100:103], v154, s[16:19], 0 offen offset:1024// 000000004730: E05C1400 8004649A
	v_mfma_scale_f32_16x16x128_f8f6f4 a[44:47], v[116:119], v[36:39], a[44:47], v142, v137 op_sel_hi:[0,0,0] cbsz:4 blgp:4// 000000004738: D3AC7800 1803138E D3AD8C2C 84B24974
	buffer_load_dword v141, v160, s[24:27], 0 offen            // 000000004748: E0501000 80068DA0
	s_waitcnt vmcnt(10)                                        // 000000004750: BF8C0F7A
	s_barrier                                                  // 000000004754: BF8A0000
	v_mfma_scale_f32_16x16x128_f8f6f4 a[48:51], v[120:123], v[24:27], a[48:51], v143, v137 op_sel_hi:[0,0,0] cbsz:4 blgp:4// 000000004758: D3AC6000 0003138F D3AD8C30 84C23178
	s_addk_i32 s60, 0x100                                      // 000000004768: B73C0100
	buffer_load_dwordx4 v[104:107], v155, s[16:19], 0 offen    // 00000000476C: E05C1000 8004689B
	v_mfma_scale_f32_16x16x128_f8f6f4 a[52:55], v[120:123], v[28:31], a[52:55], v143, v137 op_sel_hi:[0,0,0] cbsz:4 blgp:4// 000000004774: D3AC7000 0003138F D3AD8C34 84D23978
	s_cmp_lt_i32 s60, s61                                      // 000000004784: BF043D3C
	ds_read_b128 v[56:59], v148                                // 000000004788: D9FE0000 38000094
	v_mfma_scale_f32_16x16x128_f8f6f4 a[56:59], v[124:127], v[24:27], a[56:59], v143, v137 op_sel_hi:[0,0,0] cbsz:4 blgp:4// 000000004790: D3AC6800 0003138F D3AD8C38 84E2317C
	buffer_load_dwordx4 v[108:111], v156, s[16:19], 0 offen    // 0000000047A0: E05C1000 80046C9C
	v_mfma_scale_f32_16x16x128_f8f6f4 a[60:63], v[124:127], v[28:31], a[60:63], v143, v137 op_sel_hi:[0,0,0] cbsz:4 blgp:4// 0000000047A8: D3AC7800 0003138F D3AD8C3C 84F2397C
	ds_read_b128 v[64:67], v148 offset:64                      // 0000000047B8: D9FE0040 40000094
	v_mfma_scale_f32_16x16x128_f8f6f4 a[48:51], v[128:131], v[32:35], a[48:51], v143, v137 op_sel_hi:[0,0,0] cbsz:4 blgp:4// 0000000047C0: D3AC6000 1803138F D3AD8C30 84C24180
	buffer_load_dwordx4 v[112:115], v155, s[16:19], 0 offen offset:1024// 0000000047D0: E05C1400 8004709B
	v_mfma_scale_f32_16x16x128_f8f6f4 a[52:55], v[128:131], v[36:39], a[52:55], v143, v137 op_sel_hi:[0,0,0] cbsz:4 blgp:4// 0000000047D8: D3AC7000 1803138F D3AD8C34 84D24980
	ds_read_b128 v[60:63], v148 offset:512                     // 0000000047E8: D9FE0200 3C000094
	v_mfma_scale_f32_16x16x128_f8f6f4 a[56:59], v[132:135], v[32:35], a[56:59], v143, v137 op_sel_hi:[0,0,0] cbsz:4 blgp:4// 0000000047F0: D3AC6800 1803138F D3AD8C38 84E24184
	buffer_load_dwordx4 v[116:119], v156, s[16:19], 0 offen offset:1024// 000000004800: E05C1400 8004749C
	v_mfma_scale_f32_16x16x128_f8f6f4 a[60:63], v[132:135], v[36:39], a[60:63], v143, v137 op_sel_hi:[0,0,0] cbsz:4 blgp:4// 000000004808: D3AC7800 1803138F D3AD8C3C 84F24984
	ds_read_b128 v[68:71], v148 offset:576                     // 000000004818: D9FE0240 44000094
	ds_read_b32 v139, v150 offset:3072                         // 000000004820: D86C0C00 8B000096
	buffer_load_dword v142, v161, s[24:27], 0 offen            // 000000004828: E0501000 80068EA1
	s_cbranch_scc0 label_08BC                                  // 000000004830: BF8401AF
	s_waitcnt vmcnt(10) lgkmcnt(5)                             // 000000004834: BF8C057A
	v_mfma_scale_f32_16x16x128_f8f6f4 a[0:3], v[72:75], v[40:43], a[0:3], v140, v138 op_sel_hi:[0,0,0] cbsz:4 blgp:4// 000000004838: D3AC6000 0003158C D3AD8C00 84025148
	s_add_u32 s63, 0x100, s60                                  // 000000004848: 803F3CFF 00000100
	buffer_load_dwordx4 v[120:123], v157, s[16:19], 0 offen    // 000000004850: E05C1000 8004789D
	v_mfma_scale_f32_16x16x128_f8f6f4 a[4:7], v[72:75], v[44:47], a[4:7], v140, v138 op_sel_hi:[0,0,0] cbsz:4 blgp:4// 000000004858: D3AC7000 0003158C D3AD8C04 84125948
	s_cmp_lt_u32 s63, s61                                      // 000000004868: BF0A3D3F
	s_cselect_b32 s67, s67, 0                                  // 00000000486C: 85438043
	v_mfma_scale_f32_16x16x128_f8f6f4 a[8:11], v[76:79], v[40:43], a[8:11], v140, v138 op_sel_hi:[0,0,0] cbsz:4 blgp:4// 000000004870: D3AC6800 0003158C D3AD8C08 8422514C
	s_cselect_b32 s69, s69, 0                                  // 000000004880: 85458045
	buffer_load_dwordx4 v[124:127], v158, s[16:19], 0 offen    // 000000004884: E05C1000 80047C9E
	v_mfma_scale_f32_16x16x128_f8f6f4 a[12:15], v[76:79], v[44:47], a[12:15], v140, v138 op_sel_hi:[0,0,0] cbsz:4 blgp:4// 00000000488C: D3AC7800 0003158C D3AD8C0C 8432594C
	v_mfma_scale_f32_16x16x128_f8f6f4 a[0:3], v[80:83], v[48:51], a[0:3], v140, v138 op_sel_hi:[0,0,0] cbsz:4 blgp:4// 00000000489C: D3AC6000 1803158C D3AD8C00 84026150
	buffer_load_dwordx4 v[128:131], v157, s[16:19], 0 offen offset:1024// 0000000048AC: E05C1400 8004809D
	v_mfma_scale_f32_16x16x128_f8f6f4 a[4:7], v[80:83], v[52:55], a[4:7], v140, v138 op_sel_hi:[0,0,0] cbsz:4 blgp:4// 0000000048B4: D3AC7000 1803158C D3AD8C04 84126950
	v_mfma_scale_f32_16x16x128_f8f6f4 a[8:11], v[84:87], v[48:51], a[8:11], v140, v138 op_sel_hi:[0,0,0] cbsz:4 blgp:4// 0000000048C4: D3AC6800 1803158C D3AD8C08 84226154
	buffer_load_dwordx4 v[132:135], v158, s[16:19], 0 offen offset:1024// 0000000048D4: E05C1400 8004849E
	v_mfma_scale_f32_16x16x128_f8f6f4 a[12:15], v[84:87], v[52:55], a[12:15], v140, v138 op_sel_hi:[0,0,0] cbsz:4 blgp:4// 0000000048DC: D3AC7800 1803158C D3AD8C0C 84326954
	buffer_load_dword v143, v162, s[24:27], 0 offen            // 0000000048EC: E0501000 80068FA2
	s_add_u32 s16, s16, s67                                    // 0000000048F4: 80104310
	s_addc_u32 s17, 0, s17                                     // 0000000048F8: 82111180
	s_sub_u32 s18, s18, s67                                    // 0000000048FC: 80924312
	s_add_u32 s24, s24, s69                                    // 000000004900: 80184518
	s_addc_u32 s25, 0, s25                                     // 000000004904: 82191980
	s_sub_u32 s26, s26, s69                                    // 000000004908: 809A451A
	s_add_u32 m0, 0, s65                                       // 00000000490C: 807C4180
	buffer_load_dword v149, s[20:23], 0 offen lds              // 000000004910: E0511000 80050095
	s_waitcnt vmcnt(11)                                        // 000000004918: BF8C0F7B
	v_mfma_scale_f32_16x16x128_f8f6f4 a[16:19], v[88:91], v[40:43], a[16:19], v141, v138 op_sel_hi:[0,0,0] cbsz:4 blgp:4// 00000000491C: D3AC6000 0003158D D3AD8C10 84425158
	s_add_u32 m0, 0, s64                                       // 00000000492C: 807C4080
	buffer_load_dwordx4 v144, s[12:15], 0 offen lds            // 000000004930: E05D1000 80030090
	v_mfma_scale_f32_16x16x128_f8f6f4 a[20:23], v[88:91], v[44:47], a[20:23], v141, v138 op_sel_hi:[0,0,0] cbsz:4 blgp:4// 000000004938: D3AC7000 0003158D D3AD8C14 84525958
	s_add_u32 s62, 0x300, s60                                  // 000000004948: 803E3CFF 00000300
	s_cmp_lt_u32 s62, s61                                      // 000000004950: BF0A3D3E
	v_mfma_scale_f32_16x16x128_f8f6f4 a[24:27], v[92:95], v[40:43], a[24:27], v141, v138 op_sel_hi:[0,0,0] cbsz:4 blgp:4// 000000004954: D3AC6800 0003158D D3AD8C18 8462515C
	s_cselect_b32 s66, s66, 0                                  // 000000004964: 85428042
	buffer_load_dwordx4 v[72:75], v151, s[16:19], 0 offen      // 000000004968: E05C1000 80044897
	v_mfma_scale_f32_16x16x128_f8f6f4 a[28:31], v[92:95], v[44:47], a[28:31], v141, v138 op_sel_hi:[0,0,0] cbsz:4 blgp:4// 000000004970: D3AC7800 0003158D D3AD8C1C 8472595C
	s_cselect_b32 s68, s68, 0                                  // 000000004980: 85448044
	s_add_u32 s12, s12, s66                                    // 000000004984: 800C420C
	v_mfma_scale_f32_16x16x128_f8f6f4 a[16:19], v[96:99], v[48:51], a[16:19], v141, v138 op_sel_hi:[0,0,0] cbsz:4 blgp:4// 000000004988: D3AC6000 1803158D D3AD8C10 84426160
	s_addc_u32 s13, 0, s13                                     // 000000004998: 820D0D80
	buffer_load_dwordx4 v[76:79], v152, s[16:19], 0 offen      // 00000000499C: E05C1000 80044C98
	v_mfma_scale_f32_16x16x128_f8f6f4 a[20:23], v[96:99], v[52:55], a[20:23], v141, v138 op_sel_hi:[0,0,0] cbsz:4 blgp:4// 0000000049A4: D3AC7000 1803158D D3AD8C14 84526960
	s_sub_u32 s14, s14, s66                                    // 0000000049B4: 808E420E
	s_add_u32 s20, s20, s68                                    // 0000000049B8: 80144414
	v_mfma_scale_f32_16x16x128_f8f6f4 a[24:27], v[100:103], v[48:51], a[24:27], v141, v138 op_sel_hi:[0,0,0] cbsz:4 blgp:4// 0000000049BC: D3AC6800 1803158D D3AD8C18 84626164
	s_addc_u32 s21, 0, s21                                     // 0000000049CC: 82151580
	buffer_load_dwordx4 v[80:83], v151, s[16:19], 0 offen offset:1024// 0000000049D0: E05C1400 80045097
	v_mfma_scale_f32_16x16x128_f8f6f4 a[28:31], v[100:103], v[52:55], a[28:31], v141, v138 op_sel_hi:[0,0,0] cbsz:4 blgp:4// 0000000049D8: D3AC7800 1803158D D3AD8C1C 84726964
	s_sub_u32 s22, s22, s68                                    // 0000000049E8: 80964416
	buffer_load_dwordx4 v[84:87], v152, s[16:19], 0 offen offset:1024// 0000000049EC: E05C1400 80045498
	buffer_load_dword v140, v159, s[24:27], 0 offen            // 0000000049F4: E0501000 80068C9F
	s_waitcnt vmcnt(12)                                        // 0000000049FC: BF8C0F7C
	v_mfma_scale_f32_16x16x128_f8f6f4 a[32:35], v[104:107], v[40:43], a[32:35], v142, v138 op_sel_hi:[0,0,0] cbsz:4 blgp:4// 000000004A00: D3AC6000 0003158E D3AD8C20 84825168
	buffer_load_dwordx4 v[88:91], v153, s[16:19], 0 offen      // 000000004A10: E05C1000 80045899
	v_mfma_scale_f32_16x16x128_f8f6f4 a[36:39], v[104:107], v[44:47], a[36:39], v142, v138 op_sel_hi:[0,0,0] cbsz:4 blgp:4// 000000004A18: D3AC7000 0003158E D3AD8C24 84925968
	v_mfma_scale_f32_16x16x128_f8f6f4 a[40:43], v[108:111], v[40:43], a[40:43], v142, v138 op_sel_hi:[0,0,0] cbsz:4 blgp:4// 000000004A28: D3AC6800 0003158E D3AD8C28 84A2516C
	buffer_load_dwordx4 v[92:95], v154, s[16:19], 0 offen      // 000000004A38: E05C1000 80045C9A
	v_mfma_scale_f32_16x16x128_f8f6f4 a[44:47], v[108:111], v[44:47], a[44:47], v142, v138 op_sel_hi:[0,0,0] cbsz:4 blgp:4// 000000004A40: D3AC7800 0003158E D3AD8C2C 84B2596C
	v_mfma_scale_f32_16x16x128_f8f6f4 a[32:35], v[112:115], v[48:51], a[32:35], v142, v138 op_sel_hi:[0,0,0] cbsz:4 blgp:4// 000000004A50: D3AC6000 1803158E D3AD8C20 84826170
	buffer_load_dwordx4 v[96:99], v153, s[16:19], 0 offen offset:1024// 000000004A60: E05C1400 80046099
	v_mfma_scale_f32_16x16x128_f8f6f4 a[36:39], v[112:115], v[52:55], a[36:39], v142, v138 op_sel_hi:[0,0,0] cbsz:4 blgp:4// 000000004A68: D3AC7000 1803158E D3AD8C24 84926970
	v_mfma_scale_f32_16x16x128_f8f6f4 a[40:43], v[116:119], v[48:51], a[40:43], v142, v138 op_sel_hi:[0,0,0] cbsz:4 blgp:4// 000000004A78: D3AC6800 1803158E D3AD8C28 84A26174
	buffer_load_dwordx4 v[100:103], v154, s[16:19], 0 offen offset:1024// 000000004A88: E05C1400 8004649A
	v_mfma_scale_f32_16x16x128_f8f6f4 a[44:47], v[116:119], v[52:55], a[44:47], v142, v138 op_sel_hi:[0,0,0] cbsz:4 blgp:4// 000000004A90: D3AC7800 1803158E D3AD8C2C 84B26974
	buffer_load_dword v141, v160, s[24:27], 0 offen            // 000000004AA0: E0501000 80068DA0
	s_waitcnt vmcnt(10)                                        // 000000004AA8: BF8C0F7A
	s_barrier                                                  // 000000004AAC: BF8A0000
	v_mfma_scale_f32_16x16x128_f8f6f4 a[48:51], v[120:123], v[40:43], a[48:51], v143, v138 op_sel_hi:[0,0,0] cbsz:4 blgp:4// 000000004AB0: D3AC6000 0003158F D3AD8C30 84C25178
	s_addk_i32 s60, 0x100                                      // 000000004AC0: B73C0100
	buffer_load_dwordx4 v[104:107], v155, s[16:19], 0 offen    // 000000004AC4: E05C1000 8004689B
	v_mfma_scale_f32_16x16x128_f8f6f4 a[52:55], v[120:123], v[44:47], a[52:55], v143, v138 op_sel_hi:[0,0,0] cbsz:4 blgp:4// 000000004ACC: D3AC7000 0003158F D3AD8C34 84D25978
	s_cmp_lt_i32 s60, s61                                      // 000000004ADC: BF043D3C
	ds_read_b128 v[8:11], v145                                 // 000000004AE0: D9FE0000 08000091
	v_mfma_scale_f32_16x16x128_f8f6f4 a[56:59], v[124:127], v[40:43], a[56:59], v143, v138 op_sel_hi:[0,0,0] cbsz:4 blgp:4// 000000004AE8: D3AC6800 0003158F D3AD8C38 84E2517C
	buffer_load_dwordx4 v[108:111], v156, s[16:19], 0 offen    // 000000004AF8: E05C1000 80046C9C
	v_mfma_scale_f32_16x16x128_f8f6f4 a[60:63], v[124:127], v[44:47], a[60:63], v143, v138 op_sel_hi:[0,0,0] cbsz:4 blgp:4// 000000004B00: D3AC7800 0003158F D3AD8C3C 84F2597C
	ds_read_b128 v[16:19], v145 offset:64                      // 000000004B10: D9FE0040 10000091
	v_mfma_scale_f32_16x16x128_f8f6f4 a[48:51], v[128:131], v[48:51], a[48:51], v143, v138 op_sel_hi:[0,0,0] cbsz:4 blgp:4// 000000004B18: D3AC6000 1803158F D3AD8C30 84C26180
	buffer_load_dwordx4 v[112:115], v155, s[16:19], 0 offen offset:1024// 000000004B28: E05C1400 8004709B
	v_mfma_scale_f32_16x16x128_f8f6f4 a[52:55], v[128:131], v[52:55], a[52:55], v143, v138 op_sel_hi:[0,0,0] cbsz:4 blgp:4// 000000004B30: D3AC7000 1803158F D3AD8C34 84D26980
	ds_read_b128 v[12:15], v145 offset:512                     // 000000004B40: D9FE0200 0C000091
	v_mfma_scale_f32_16x16x128_f8f6f4 a[56:59], v[132:135], v[48:51], a[56:59], v143, v138 op_sel_hi:[0,0,0] cbsz:4 blgp:4// 000000004B48: D3AC6800 1803158F D3AD8C38 84E26184
	buffer_load_dwordx4 v[116:119], v156, s[16:19], 0 offen offset:1024// 000000004B58: E05C1400 8004749C
	v_mfma_scale_f32_16x16x128_f8f6f4 a[60:63], v[132:135], v[52:55], a[60:63], v143, v138 op_sel_hi:[0,0,0] cbsz:4 blgp:4// 000000004B60: D3AC7800 1803158F D3AD8C3C 84F26984
	ds_read_b128 v[20:23], v145 offset:576                     // 000000004B70: D9FE0240 14000091
	ds_read_b32 v136, v150                                     // 000000004B78: D86C0000 88000096
	buffer_load_dword v142, v161, s[24:27], 0 offen            // 000000004B80: E0501000 80068EA1
	s_cbranch_scc0 label_08BC                                  // 000000004B88: BF8400D9
	s_waitcnt vmcnt(10) lgkmcnt(5)                             // 000000004B8C: BF8C057A
	v_mfma_scale_f32_16x16x128_f8f6f4 a[0:3], v[72:75], v[56:59], a[0:3], v140, v139 op_sel_hi:[0,0,0] cbsz:4 blgp:4// 000000004B90: D3AC6000 0003178C D3AD8C00 84027148
	s_add_u32 s63, 0x100, s60                                  // 000000004BA0: 803F3CFF 00000100
	buffer_load_dwordx4 v[120:123], v157, s[16:19], 0 offen    // 000000004BA8: E05C1000 8004789D
	v_mfma_scale_f32_16x16x128_f8f6f4 a[4:7], v[72:75], v[60:63], a[4:7], v140, v139 op_sel_hi:[0,0,0] cbsz:4 blgp:4// 000000004BB0: D3AC7000 0003178C D3AD8C04 84127948
	s_cmp_lt_u32 s63, s61                                      // 000000004BC0: BF0A3D3F
	s_cselect_b32 s67, s67, 0                                  // 000000004BC4: 85438043
	v_mfma_scale_f32_16x16x128_f8f6f4 a[8:11], v[76:79], v[56:59], a[8:11], v140, v139 op_sel_hi:[0,0,0] cbsz:4 blgp:4// 000000004BC8: D3AC6800 0003178C D3AD8C08 8422714C
	s_cselect_b32 s69, s69, 0                                  // 000000004BD8: 85458045
	buffer_load_dwordx4 v[124:127], v158, s[16:19], 0 offen    // 000000004BDC: E05C1000 80047C9E
	v_mfma_scale_f32_16x16x128_f8f6f4 a[12:15], v[76:79], v[60:63], a[12:15], v140, v139 op_sel_hi:[0,0,0] cbsz:4 blgp:4// 000000004BE4: D3AC7800 0003178C D3AD8C0C 8432794C
	v_mfma_scale_f32_16x16x128_f8f6f4 a[0:3], v[80:83], v[64:67], a[0:3], v140, v139 op_sel_hi:[0,0,0] cbsz:4 blgp:4// 000000004BF4: D3AC6000 1803178C D3AD8C00 84028150
	buffer_load_dwordx4 v[128:131], v157, s[16:19], 0 offen offset:1024// 000000004C04: E05C1400 8004809D
	v_mfma_scale_f32_16x16x128_f8f6f4 a[4:7], v[80:83], v[68:71], a[4:7], v140, v139 op_sel_hi:[0,0,0] cbsz:4 blgp:4// 000000004C0C: D3AC7000 1803178C D3AD8C04 84128950
	v_mfma_scale_f32_16x16x128_f8f6f4 a[8:11], v[84:87], v[64:67], a[8:11], v140, v139 op_sel_hi:[0,0,0] cbsz:4 blgp:4// 000000004C1C: D3AC6800 1803178C D3AD8C08 84228154
	buffer_load_dwordx4 v[132:135], v158, s[16:19], 0 offen offset:1024// 000000004C2C: E05C1400 8004849E
	v_mfma_scale_f32_16x16x128_f8f6f4 a[12:15], v[84:87], v[68:71], a[12:15], v140, v139 op_sel_hi:[0,0,0] cbsz:4 blgp:4// 000000004C34: D3AC7800 1803178C D3AD8C0C 84328954
	buffer_load_dword v143, v162, s[24:27], 0 offen            // 000000004C44: E0501000 80068FA2
	s_add_u32 s16, s16, s67                                    // 000000004C4C: 80104310
	s_addc_u32 s17, 0, s17                                     // 000000004C50: 82111180
	s_sub_u32 s18, s18, s67                                    // 000000004C54: 80924312
	s_add_u32 s24, s24, s69                                    // 000000004C58: 80184518
	s_addc_u32 s25, 0, s25                                     // 000000004C5C: 82191980
	s_sub_u32 s26, s26, s69                                    // 000000004C60: 809A451A
	s_add_u32 m0, 0x400, s65                                   // 000000004C64: 807C41FF 00000400
	buffer_load_dword v149, s[20:23], 0 offen lds              // 000000004C6C: E0511000 80050095
	s_waitcnt vmcnt(11)                                        // 000000004C74: BF8C0F7B
	v_mfma_scale_f32_16x16x128_f8f6f4 a[16:19], v[88:91], v[56:59], a[16:19], v141, v139 op_sel_hi:[0,0,0] cbsz:4 blgp:4// 000000004C78: D3AC6000 0003178D D3AD8C10 84427158
	s_add_u32 m0, 0x1080, s64                                  // 000000004C88: 807C40FF 00001080
	buffer_load_dwordx4 v144, s[12:15], 0 offen lds            // 000000004C90: E05D1000 80030090
	v_mfma_scale_f32_16x16x128_f8f6f4 a[20:23], v[88:91], v[60:63], a[20:23], v141, v139 op_sel_hi:[0,0,0] cbsz:4 blgp:4// 000000004C98: D3AC7000 0003178D D3AD8C14 84527958
	s_add_u32 s62, 0x300, s60                                  // 000000004CA8: 803E3CFF 00000300
	s_cmp_lt_u32 s62, s61                                      // 000000004CB0: BF0A3D3E
	v_mfma_scale_f32_16x16x128_f8f6f4 a[24:27], v[92:95], v[56:59], a[24:27], v141, v139 op_sel_hi:[0,0,0] cbsz:4 blgp:4// 000000004CB4: D3AC6800 0003178D D3AD8C18 8462715C
	s_cselect_b32 s66, s66, 0                                  // 000000004CC4: 85428042
	buffer_load_dwordx4 v[72:75], v151, s[16:19], 0 offen      // 000000004CC8: E05C1000 80044897
	v_mfma_scale_f32_16x16x128_f8f6f4 a[28:31], v[92:95], v[60:63], a[28:31], v141, v139 op_sel_hi:[0,0,0] cbsz:4 blgp:4// 000000004CD0: D3AC7800 0003178D D3AD8C1C 8472795C
	s_cselect_b32 s68, s68, 0                                  // 000000004CE0: 85448044
	s_add_u32 s12, s12, s66                                    // 000000004CE4: 800C420C
	v_mfma_scale_f32_16x16x128_f8f6f4 a[16:19], v[96:99], v[64:67], a[16:19], v141, v139 op_sel_hi:[0,0,0] cbsz:4 blgp:4// 000000004CE8: D3AC6000 1803178D D3AD8C10 84428160
	s_addc_u32 s13, 0, s13                                     // 000000004CF8: 820D0D80
	buffer_load_dwordx4 v[76:79], v152, s[16:19], 0 offen      // 000000004CFC: E05C1000 80044C98
	v_mfma_scale_f32_16x16x128_f8f6f4 a[20:23], v[96:99], v[68:71], a[20:23], v141, v139 op_sel_hi:[0,0,0] cbsz:4 blgp:4// 000000004D04: D3AC7000 1803178D D3AD8C14 84528960
	s_sub_u32 s14, s14, s66                                    // 000000004D14: 808E420E
	s_add_u32 s20, s20, s68                                    // 000000004D18: 80144414
	v_mfma_scale_f32_16x16x128_f8f6f4 a[24:27], v[100:103], v[64:67], a[24:27], v141, v139 op_sel_hi:[0,0,0] cbsz:4 blgp:4// 000000004D1C: D3AC6800 1803178D D3AD8C18 84628164
	s_addc_u32 s21, 0, s21                                     // 000000004D2C: 82151580
	buffer_load_dwordx4 v[80:83], v151, s[16:19], 0 offen offset:1024// 000000004D30: E05C1400 80045097
	v_mfma_scale_f32_16x16x128_f8f6f4 a[28:31], v[100:103], v[68:71], a[28:31], v141, v139 op_sel_hi:[0,0,0] cbsz:4 blgp:4// 000000004D38: D3AC7800 1803178D D3AD8C1C 84728964
	s_sub_u32 s22, s22, s68                                    // 000000004D48: 80964416
	buffer_load_dwordx4 v[84:87], v152, s[16:19], 0 offen offset:1024// 000000004D4C: E05C1400 80045498
	buffer_load_dword v140, v159, s[24:27], 0 offen            // 000000004D54: E0501000 80068C9F
	s_waitcnt vmcnt(12)                                        // 000000004D5C: BF8C0F7C
	v_mfma_scale_f32_16x16x128_f8f6f4 a[32:35], v[104:107], v[56:59], a[32:35], v142, v139 op_sel_hi:[0,0,0] cbsz:4 blgp:4// 000000004D60: D3AC6000 0003178E D3AD8C20 84827168
	buffer_load_dwordx4 v[88:91], v153, s[16:19], 0 offen      // 000000004D70: E05C1000 80045899
	v_mfma_scale_f32_16x16x128_f8f6f4 a[36:39], v[104:107], v[60:63], a[36:39], v142, v139 op_sel_hi:[0,0,0] cbsz:4 blgp:4// 000000004D78: D3AC7000 0003178E D3AD8C24 84927968
	v_mfma_scale_f32_16x16x128_f8f6f4 a[40:43], v[108:111], v[56:59], a[40:43], v142, v139 op_sel_hi:[0,0,0] cbsz:4 blgp:4// 000000004D88: D3AC6800 0003178E D3AD8C28 84A2716C
	buffer_load_dwordx4 v[92:95], v154, s[16:19], 0 offen      // 000000004D98: E05C1000 80045C9A
	v_mfma_scale_f32_16x16x128_f8f6f4 a[44:47], v[108:111], v[60:63], a[44:47], v142, v139 op_sel_hi:[0,0,0] cbsz:4 blgp:4// 000000004DA0: D3AC7800 0003178E D3AD8C2C 84B2796C
	v_mfma_scale_f32_16x16x128_f8f6f4 a[32:35], v[112:115], v[64:67], a[32:35], v142, v139 op_sel_hi:[0,0,0] cbsz:4 blgp:4// 000000004DB0: D3AC6000 1803178E D3AD8C20 84828170
	buffer_load_dwordx4 v[96:99], v153, s[16:19], 0 offen offset:1024// 000000004DC0: E05C1400 80046099
	v_mfma_scale_f32_16x16x128_f8f6f4 a[36:39], v[112:115], v[68:71], a[36:39], v142, v139 op_sel_hi:[0,0,0] cbsz:4 blgp:4// 000000004DC8: D3AC7000 1803178E D3AD8C24 84928970
	v_mfma_scale_f32_16x16x128_f8f6f4 a[40:43], v[116:119], v[64:67], a[40:43], v142, v139 op_sel_hi:[0,0,0] cbsz:4 blgp:4// 000000004DD8: D3AC6800 1803178E D3AD8C28 84A28174
	buffer_load_dwordx4 v[100:103], v154, s[16:19], 0 offen offset:1024// 000000004DE8: E05C1400 8004649A
	v_mfma_scale_f32_16x16x128_f8f6f4 a[44:47], v[116:119], v[68:71], a[44:47], v142, v139 op_sel_hi:[0,0,0] cbsz:4 blgp:4// 000000004DF0: D3AC7800 1803178E D3AD8C2C 84B28974
	buffer_load_dword v141, v160, s[24:27], 0 offen            // 000000004E00: E0501000 80068DA0
	s_waitcnt vmcnt(10)                                        // 000000004E08: BF8C0F7A
	s_barrier                                                  // 000000004E0C: BF8A0000
	v_mfma_scale_f32_16x16x128_f8f6f4 a[48:51], v[120:123], v[56:59], a[48:51], v143, v139 op_sel_hi:[0,0,0] cbsz:4 blgp:4// 000000004E10: D3AC6000 0003178F D3AD8C30 84C27178
	s_addk_i32 s60, 0x100                                      // 000000004E20: B73C0100
	buffer_load_dwordx4 v[104:107], v155, s[16:19], 0 offen    // 000000004E24: E05C1000 8004689B
	v_mfma_scale_f32_16x16x128_f8f6f4 a[52:55], v[120:123], v[60:63], a[52:55], v143, v139 op_sel_hi:[0,0,0] cbsz:4 blgp:4// 000000004E2C: D3AC7000 0003178F D3AD8C34 84D27978
	s_cmp_lt_i32 s60, s61                                      // 000000004E3C: BF043D3C
	ds_read_b128 v[24:27], v146                                // 000000004E40: D9FE0000 18000092
	v_mfma_scale_f32_16x16x128_f8f6f4 a[56:59], v[124:127], v[56:59], a[56:59], v143, v139 op_sel_hi:[0,0,0] cbsz:4 blgp:4// 000000004E48: D3AC6800 0003178F D3AD8C38 84E2717C
	buffer_load_dwordx4 v[108:111], v156, s[16:19], 0 offen    // 000000004E58: E05C1000 80046C9C
	v_mfma_scale_f32_16x16x128_f8f6f4 a[60:63], v[124:127], v[60:63], a[60:63], v143, v139 op_sel_hi:[0,0,0] cbsz:4 blgp:4// 000000004E60: D3AC7800 0003178F D3AD8C3C 84F2797C
	ds_read_b128 v[32:35], v146 offset:64                      // 000000004E70: D9FE0040 20000092
	v_mfma_scale_f32_16x16x128_f8f6f4 a[48:51], v[128:131], v[64:67], a[48:51], v143, v139 op_sel_hi:[0,0,0] cbsz:4 blgp:4// 000000004E78: D3AC6000 1803178F D3AD8C30 84C28180
	buffer_load_dwordx4 v[112:115], v155, s[16:19], 0 offen offset:1024// 000000004E88: E05C1400 8004709B
	v_mfma_scale_f32_16x16x128_f8f6f4 a[52:55], v[128:131], v[68:71], a[52:55], v143, v139 op_sel_hi:[0,0,0] cbsz:4 blgp:4// 000000004E90: D3AC7000 1803178F D3AD8C34 84D28980
	ds_read_b128 v[28:31], v146 offset:512                     // 000000004EA0: D9FE0200 1C000092
	v_mfma_scale_f32_16x16x128_f8f6f4 a[56:59], v[132:135], v[64:67], a[56:59], v143, v139 op_sel_hi:[0,0,0] cbsz:4 blgp:4// 000000004EA8: D3AC6800 1803178F D3AD8C38 84E28184
	buffer_load_dwordx4 v[116:119], v156, s[16:19], 0 offen offset:1024// 000000004EB8: E05C1400 8004749C
	v_mfma_scale_f32_16x16x128_f8f6f4 a[60:63], v[132:135], v[68:71], a[60:63], v143, v139 op_sel_hi:[0,0,0] cbsz:4 blgp:4// 000000004EC0: D3AC7800 1803178F D3AD8C3C 84F28984
	ds_read_b128 v[36:39], v146 offset:576                     // 000000004ED0: D9FE0240 24000092
	ds_read_b32 v137, v150 offset:1024                         // 000000004ED8: D86C0400 89000096
	buffer_load_dword v142, v161, s[24:27], 0 offen            // 000000004EE0: E0501000 80068EA1
	s_cbranch_scc0 label_08BC                                  // 000000004EE8: BF840001
	s_branch label_055D                                        // 000000004EEC: BF82FCA1

0000000000004ef0 <label_08BC>:
	s_waitcnt lgkmcnt(0)                                       // 000000004EF0: BF8CC07F
	s_mul_i32 s62, s47, 0x200                                  // 000000004EF4: 923EFF2F 00000200
	s_mul_i32 s63, s46, 0x80                                   // 000000004EFC: 923FFF2E 00000080
	s_add_u32 s60, s62, s63                                    // 000000004F04: 803C3F3E
	s_add_u32 s62, s60, 0x80                                   // 000000004F08: 803EFF3C 00000080
	s_cmp_lt_i32 s44, s62                                      // 000000004F10: BF043E2C
	s_cbranch_scc1 label_09CE                                  // 000000004F14: BF850108
	s_mul_i32 s62, s36, 16                                     // 000000004F18: 923E9024
	v_add_u32_e32 v167, 0, v163                                // 000000004F1C: 694F4680
	v_accvgpr_read_b32 v8, a0                                  // 000000004F20: D3D84008 18000100
	v_accvgpr_read_b32 v9, a1                                  // 000000004F28: D3D84009 18000101
	v_accvgpr_read_b32 v10, a2                                 // 000000004F30: D3D8400A 18000102
	v_accvgpr_read_b32 v11, a3                                 // 000000004F38: D3D8400B 18000103
	v_accvgpr_read_b32 v12, a8                                 // 000000004F40: D3D8400C 18000108
	v_accvgpr_read_b32 v13, a9                                 // 000000004F48: D3D8400D 18000109
	v_accvgpr_read_b32 v14, a10                                // 000000004F50: D3D8400E 1800010A
	v_accvgpr_read_b32 v15, a11                                // 000000004F58: D3D8400F 1800010B
	v_cvt_pk_bf16_f32 v16, v8, v9                              // 000000004F60: D2680010 00021308
	v_cvt_pk_bf16_f32 v17, v10, v11                            // 000000004F68: D2680011 0002170A
	v_cvt_pk_bf16_f32 v18, v12, v13                            // 000000004F70: D2680012 00021B0C
	v_cvt_pk_bf16_f32 v19, v14, v15                            // 000000004F78: D2680013 00021F0E
	s_nop 1                                                    // 000000004F80: BF800001
	v_permlane16_swap_b32_e32 v16, v18                         // 000000004F84: 7E20B312
	s_nop 1                                                    // 000000004F88: BF800001
	v_permlane16_swap_b32_e32 v17, v19                         // 000000004F8C: 7E22B313
	s_nop 1                                                    // 000000004F90: BF800001
	buffer_store_dwordx4 v[16:19], v167, s[4:7], 0 offen       // 000000004F94: E07C1000 800110A7
	v_add_u32_e32 v167, s62, v167                              // 000000004F9C: 694F4E3E
	v_accvgpr_read_b32 v8, a4                                  // 000000004FA0: D3D84008 18000104
	v_accvgpr_read_b32 v9, a5                                  // 000000004FA8: D3D84009 18000105
	v_accvgpr_read_b32 v10, a6                                 // 000000004FB0: D3D8400A 18000106
	v_accvgpr_read_b32 v11, a7                                 // 000000004FB8: D3D8400B 18000107
	v_accvgpr_read_b32 v12, a12                                // 000000004FC0: D3D8400C 1800010C
	v_accvgpr_read_b32 v13, a13                                // 000000004FC8: D3D8400D 1800010D
	v_accvgpr_read_b32 v14, a14                                // 000000004FD0: D3D8400E 1800010E
	v_accvgpr_read_b32 v15, a15                                // 000000004FD8: D3D8400F 1800010F
	v_cvt_pk_bf16_f32 v16, v8, v9                              // 000000004FE0: D2680010 00021308
	v_cvt_pk_bf16_f32 v17, v10, v11                            // 000000004FE8: D2680011 0002170A
	v_cvt_pk_bf16_f32 v18, v12, v13                            // 000000004FF0: D2680012 00021B0C
	v_cvt_pk_bf16_f32 v19, v14, v15                            // 000000004FF8: D2680013 00021F0E
	s_nop 1                                                    // 000000005000: BF800001
	v_permlane16_swap_b32_e32 v16, v18                         // 000000005004: 7E20B312
	s_nop 1                                                    // 000000005008: BF800001
	v_permlane16_swap_b32_e32 v17, v19                         // 00000000500C: 7E22B313
	s_nop 1                                                    // 000000005010: BF800001
	buffer_store_dwordx4 v[16:19], v167, s[4:7], 0 offen       // 000000005014: E07C1000 800110A7
	v_add_u32_e32 v167, s62, v167                              // 00000000501C: 694F4E3E
	v_add_u32_e32 v167, 64, v163                               // 000000005020: 694F46C0
	v_accvgpr_read_b32 v8, a16                                 // 000000005024: D3D84008 18000110
	v_accvgpr_read_b32 v9, a17                                 // 00000000502C: D3D84009 18000111
	v_accvgpr_read_b32 v10, a18                                // 000000005034: D3D8400A 18000112
	v_accvgpr_read_b32 v11, a19                                // 00000000503C: D3D8400B 18000113
	v_accvgpr_read_b32 v12, a24                                // 000000005044: D3D8400C 18000118
	v_accvgpr_read_b32 v13, a25                                // 00000000504C: D3D8400D 18000119
	v_accvgpr_read_b32 v14, a26                                // 000000005054: D3D8400E 1800011A
	v_accvgpr_read_b32 v15, a27                                // 00000000505C: D3D8400F 1800011B
	v_cvt_pk_bf16_f32 v16, v8, v9                              // 000000005064: D2680010 00021308
	v_cvt_pk_bf16_f32 v17, v10, v11                            // 00000000506C: D2680011 0002170A
	v_cvt_pk_bf16_f32 v18, v12, v13                            // 000000005074: D2680012 00021B0C
	v_cvt_pk_bf16_f32 v19, v14, v15                            // 00000000507C: D2680013 00021F0E
	s_nop 1                                                    // 000000005084: BF800001
	v_permlane16_swap_b32_e32 v16, v18                         // 000000005088: 7E20B312
	s_nop 1                                                    // 00000000508C: BF800001
	v_permlane16_swap_b32_e32 v17, v19                         // 000000005090: 7E22B313
	s_nop 1                                                    // 000000005094: BF800001
	buffer_store_dwordx4 v[16:19], v167, s[4:7], 0 offen       // 000000005098: E07C1000 800110A7
	v_add_u32_e32 v167, s62, v167                              // 0000000050A0: 694F4E3E
	v_accvgpr_read_b32 v8, a20                                 // 0000000050A4: D3D84008 18000114
	v_accvgpr_read_b32 v9, a21                                 // 0000000050AC: D3D84009 18000115
	v_accvgpr_read_b32 v10, a22                                // 0000000050B4: D3D8400A 18000116
	v_accvgpr_read_b32 v11, a23                                // 0000000050BC: D3D8400B 18000117
	v_accvgpr_read_b32 v12, a28                                // 0000000050C4: D3D8400C 1800011C
	v_accvgpr_read_b32 v13, a29                                // 0000000050CC: D3D8400D 1800011D
	v_accvgpr_read_b32 v14, a30                                // 0000000050D4: D3D8400E 1800011E
	v_accvgpr_read_b32 v15, a31                                // 0000000050DC: D3D8400F 1800011F
	v_cvt_pk_bf16_f32 v16, v8, v9                              // 0000000050E4: D2680010 00021308
	v_cvt_pk_bf16_f32 v17, v10, v11                            // 0000000050EC: D2680011 0002170A
	v_cvt_pk_bf16_f32 v18, v12, v13                            // 0000000050F4: D2680012 00021B0C
	v_cvt_pk_bf16_f32 v19, v14, v15                            // 0000000050FC: D2680013 00021F0E
	s_nop 1                                                    // 000000005104: BF800001
	v_permlane16_swap_b32_e32 v16, v18                         // 000000005108: 7E20B312
	s_nop 1                                                    // 00000000510C: BF800001
	v_permlane16_swap_b32_e32 v17, v19                         // 000000005110: 7E22B313
	s_nop 1                                                    // 000000005114: BF800001
	buffer_store_dwordx4 v[16:19], v167, s[4:7], 0 offen       // 000000005118: E07C1000 800110A7
	v_add_u32_e32 v167, s62, v167                              // 000000005120: 694F4E3E
	v_add_u32_e32 v167, 0x80, v163                             // 000000005124: 694F46FF 00000080
	v_accvgpr_read_b32 v8, a32                                 // 00000000512C: D3D84008 18000120
	v_accvgpr_read_b32 v9, a33                                 // 000000005134: D3D84009 18000121
	v_accvgpr_read_b32 v10, a34                                // 00000000513C: D3D8400A 18000122
	v_accvgpr_read_b32 v11, a35                                // 000000005144: D3D8400B 18000123
	v_accvgpr_read_b32 v12, a40                                // 00000000514C: D3D8400C 18000128
	v_accvgpr_read_b32 v13, a41                                // 000000005154: D3D8400D 18000129
	v_accvgpr_read_b32 v14, a42                                // 00000000515C: D3D8400E 1800012A
	v_accvgpr_read_b32 v15, a43                                // 000000005164: D3D8400F 1800012B
	v_cvt_pk_bf16_f32 v16, v8, v9                              // 00000000516C: D2680010 00021308
	v_cvt_pk_bf16_f32 v17, v10, v11                            // 000000005174: D2680011 0002170A
	v_cvt_pk_bf16_f32 v18, v12, v13                            // 00000000517C: D2680012 00021B0C
	v_cvt_pk_bf16_f32 v19, v14, v15                            // 000000005184: D2680013 00021F0E
	s_nop 1                                                    // 00000000518C: BF800001
	v_permlane16_swap_b32_e32 v16, v18                         // 000000005190: 7E20B312
	s_nop 1                                                    // 000000005194: BF800001
	v_permlane16_swap_b32_e32 v17, v19                         // 000000005198: 7E22B313
	s_nop 1                                                    // 00000000519C: BF800001
	buffer_store_dwordx4 v[16:19], v167, s[4:7], 0 offen       // 0000000051A0: E07C1000 800110A7
	v_add_u32_e32 v167, s62, v167                              // 0000000051A8: 694F4E3E
	v_accvgpr_read_b32 v8, a36                                 // 0000000051AC: D3D84008 18000124
	v_accvgpr_read_b32 v9, a37                                 // 0000000051B4: D3D84009 18000125
	v_accvgpr_read_b32 v10, a38                                // 0000000051BC: D3D8400A 18000126
	v_accvgpr_read_b32 v11, a39                                // 0000000051C4: D3D8400B 18000127
	v_accvgpr_read_b32 v12, a44                                // 0000000051CC: D3D8400C 1800012C
	v_accvgpr_read_b32 v13, a45                                // 0000000051D4: D3D8400D 1800012D
	v_accvgpr_read_b32 v14, a46                                // 0000000051DC: D3D8400E 1800012E
	v_accvgpr_read_b32 v15, a47                                // 0000000051E4: D3D8400F 1800012F
	v_cvt_pk_bf16_f32 v16, v8, v9                              // 0000000051EC: D2680010 00021308
	v_cvt_pk_bf16_f32 v17, v10, v11                            // 0000000051F4: D2680011 0002170A
	v_cvt_pk_bf16_f32 v18, v12, v13                            // 0000000051FC: D2680012 00021B0C
	v_cvt_pk_bf16_f32 v19, v14, v15                            // 000000005204: D2680013 00021F0E
	s_nop 1                                                    // 00000000520C: BF800001
	v_permlane16_swap_b32_e32 v16, v18                         // 000000005210: 7E20B312
	s_nop 1                                                    // 000000005214: BF800001
	v_permlane16_swap_b32_e32 v17, v19                         // 000000005218: 7E22B313
	s_nop 1                                                    // 00000000521C: BF800001
	buffer_store_dwordx4 v[16:19], v167, s[4:7], 0 offen       // 000000005220: E07C1000 800110A7
	v_add_u32_e32 v167, s62, v167                              // 000000005228: 694F4E3E
	v_add_u32_e32 v167, 0xc0, v163                             // 00000000522C: 694F46FF 000000C0
	v_accvgpr_read_b32 v8, a48                                 // 000000005234: D3D84008 18000130
	v_accvgpr_read_b32 v9, a49                                 // 00000000523C: D3D84009 18000131
	v_accvgpr_read_b32 v10, a50                                // 000000005244: D3D8400A 18000132
	v_accvgpr_read_b32 v11, a51                                // 00000000524C: D3D8400B 18000133
	v_accvgpr_read_b32 v12, a56                                // 000000005254: D3D8400C 18000138
	v_accvgpr_read_b32 v13, a57                                // 00000000525C: D3D8400D 18000139
	v_accvgpr_read_b32 v14, a58                                // 000000005264: D3D8400E 1800013A
	v_accvgpr_read_b32 v15, a59                                // 00000000526C: D3D8400F 1800013B
	v_cvt_pk_bf16_f32 v16, v8, v9                              // 000000005274: D2680010 00021308
	v_cvt_pk_bf16_f32 v17, v10, v11                            // 00000000527C: D2680011 0002170A
	v_cvt_pk_bf16_f32 v18, v12, v13                            // 000000005284: D2680012 00021B0C
	v_cvt_pk_bf16_f32 v19, v14, v15                            // 00000000528C: D2680013 00021F0E
	s_nop 1                                                    // 000000005294: BF800001
	v_permlane16_swap_b32_e32 v16, v18                         // 000000005298: 7E20B312
	s_nop 1                                                    // 00000000529C: BF800001
	v_permlane16_swap_b32_e32 v17, v19                         // 0000000052A0: 7E22B313
	s_nop 1                                                    // 0000000052A4: BF800001
	buffer_store_dwordx4 v[16:19], v167, s[4:7], 0 offen       // 0000000052A8: E07C1000 800110A7
	v_add_u32_e32 v167, s62, v167                              // 0000000052B0: 694F4E3E
	v_accvgpr_read_b32 v8, a52                                 // 0000000052B4: D3D84008 18000134
	v_accvgpr_read_b32 v9, a53                                 // 0000000052BC: D3D84009 18000135
	v_accvgpr_read_b32 v10, a54                                // 0000000052C4: D3D8400A 18000136
	v_accvgpr_read_b32 v11, a55                                // 0000000052CC: D3D8400B 18000137
	v_accvgpr_read_b32 v12, a60                                // 0000000052D4: D3D8400C 1800013C
	v_accvgpr_read_b32 v13, a61                                // 0000000052DC: D3D8400D 1800013D
	v_accvgpr_read_b32 v14, a62                                // 0000000052E4: D3D8400E 1800013E
	v_accvgpr_read_b32 v15, a63                                // 0000000052EC: D3D8400F 1800013F
	v_cvt_pk_bf16_f32 v16, v8, v9                              // 0000000052F4: D2680010 00021308
	v_cvt_pk_bf16_f32 v17, v10, v11                            // 0000000052FC: D2680011 0002170A
	v_cvt_pk_bf16_f32 v18, v12, v13                            // 000000005304: D2680012 00021B0C
	v_cvt_pk_bf16_f32 v19, v14, v15                            // 00000000530C: D2680013 00021F0E
	s_nop 1                                                    // 000000005314: BF800001
	v_permlane16_swap_b32_e32 v16, v18                         // 000000005318: 7E20B312
	s_nop 1                                                    // 00000000531C: BF800001
	v_permlane16_swap_b32_e32 v17, v19                         // 000000005320: 7E22B313
	s_nop 1                                                    // 000000005324: BF800001
	buffer_store_dwordx4 v[16:19], v167, s[4:7], 0 offen       // 000000005328: E07C1000 800110A7
	v_add_u32_e32 v167, s62, v167                              // 000000005330: 694F4E3E
	s_branch label_0AE1                                        // 000000005334: BF820113

0000000000005338 <label_09CE>:
	s_mul_i32 s62, s36, 16                                     // 000000005338: 923E9024
	s_cmp_lt_i32 s60, s44                                      // 00000000533C: BF042C3C
	s_cbranch_scc0 label_0AE1                                  // 000000005340: BF840110
	s_addk_i32 s60, 0x20                                       // 000000005344: B73C0020
	v_add_u32_e32 v167, 0, v163                                // 000000005348: 694F4680
	v_accvgpr_read_b32 v8, a0                                  // 00000000534C: D3D84008 18000100
	v_accvgpr_read_b32 v9, a1                                  // 000000005354: D3D84009 18000101
	v_accvgpr_read_b32 v10, a2                                 // 00000000535C: D3D8400A 18000102
	v_accvgpr_read_b32 v11, a3                                 // 000000005364: D3D8400B 18000103
	v_accvgpr_read_b32 v12, a8                                 // 00000000536C: D3D8400C 18000108
	v_accvgpr_read_b32 v13, a9                                 // 000000005374: D3D8400D 18000109
	v_accvgpr_read_b32 v14, a10                                // 00000000537C: D3D8400E 1800010A
	v_accvgpr_read_b32 v15, a11                                // 000000005384: D3D8400F 1800010B
	v_cvt_pk_bf16_f32 v16, v8, v9                              // 00000000538C: D2680010 00021308
	v_cvt_pk_bf16_f32 v17, v10, v11                            // 000000005394: D2680011 0002170A
	v_cvt_pk_bf16_f32 v18, v12, v13                            // 00000000539C: D2680012 00021B0C
	v_cvt_pk_bf16_f32 v19, v14, v15                            // 0000000053A4: D2680013 00021F0E
	s_nop 1                                                    // 0000000053AC: BF800001
	v_permlane16_swap_b32_e32 v16, v18                         // 0000000053B0: 7E20B312
	s_nop 1                                                    // 0000000053B4: BF800001
	v_permlane16_swap_b32_e32 v17, v19                         // 0000000053B8: 7E22B313
	s_nop 1                                                    // 0000000053BC: BF800001
	buffer_store_dwordx4 v[16:19], v167, s[4:7], 0 offen       // 0000000053C0: E07C1000 800110A7
	v_add_u32_e32 v167, s62, v167                              // 0000000053C8: 694F4E3E
	v_accvgpr_read_b32 v8, a4                                  // 0000000053CC: D3D84008 18000104
	v_accvgpr_read_b32 v9, a5                                  // 0000000053D4: D3D84009 18000105
	v_accvgpr_read_b32 v10, a6                                 // 0000000053DC: D3D8400A 18000106
	v_accvgpr_read_b32 v11, a7                                 // 0000000053E4: D3D8400B 18000107
	v_accvgpr_read_b32 v12, a12                                // 0000000053EC: D3D8400C 1800010C
	v_accvgpr_read_b32 v13, a13                                // 0000000053F4: D3D8400D 1800010D
	v_accvgpr_read_b32 v14, a14                                // 0000000053FC: D3D8400E 1800010E
	v_accvgpr_read_b32 v15, a15                                // 000000005404: D3D8400F 1800010F
	v_cvt_pk_bf16_f32 v16, v8, v9                              // 00000000540C: D2680010 00021308
	v_cvt_pk_bf16_f32 v17, v10, v11                            // 000000005414: D2680011 0002170A
	v_cvt_pk_bf16_f32 v18, v12, v13                            // 00000000541C: D2680012 00021B0C
	v_cvt_pk_bf16_f32 v19, v14, v15                            // 000000005424: D2680013 00021F0E
	s_nop 1                                                    // 00000000542C: BF800001
	v_permlane16_swap_b32_e32 v16, v18                         // 000000005430: 7E20B312
	s_nop 1                                                    // 000000005434: BF800001
	v_permlane16_swap_b32_e32 v17, v19                         // 000000005438: 7E22B313
	s_nop 1                                                    // 00000000543C: BF800001
	buffer_store_dwordx4 v[16:19], v167, s[4:7], 0 offen       // 000000005440: E07C1000 800110A7
	v_add_u32_e32 v167, s62, v167                              // 000000005448: 694F4E3E
	s_cmp_lt_i32 s60, s44                                      // 00000000544C: BF042C3C
	s_cbranch_scc0 label_0AE1                                  // 000000005450: BF8400CC
	s_addk_i32 s60, 0x20                                       // 000000005454: B73C0020
	v_add_u32_e32 v167, 64, v163                               // 000000005458: 694F46C0
	v_accvgpr_read_b32 v8, a16                                 // 00000000545C: D3D84008 18000110
	v_accvgpr_read_b32 v9, a17                                 // 000000005464: D3D84009 18000111
	v_accvgpr_read_b32 v10, a18                                // 00000000546C: D3D8400A 18000112
	v_accvgpr_read_b32 v11, a19                                // 000000005474: D3D8400B 18000113
	v_accvgpr_read_b32 v12, a24                                // 00000000547C: D3D8400C 18000118
	v_accvgpr_read_b32 v13, a25                                // 000000005484: D3D8400D 18000119
	v_accvgpr_read_b32 v14, a26                                // 00000000548C: D3D8400E 1800011A
	v_accvgpr_read_b32 v15, a27                                // 000000005494: D3D8400F 1800011B
	v_cvt_pk_bf16_f32 v16, v8, v9                              // 00000000549C: D2680010 00021308
	v_cvt_pk_bf16_f32 v17, v10, v11                            // 0000000054A4: D2680011 0002170A
	v_cvt_pk_bf16_f32 v18, v12, v13                            // 0000000054AC: D2680012 00021B0C
	v_cvt_pk_bf16_f32 v19, v14, v15                            // 0000000054B4: D2680013 00021F0E
	s_nop 1                                                    // 0000000054BC: BF800001
	v_permlane16_swap_b32_e32 v16, v18                         // 0000000054C0: 7E20B312
	s_nop 1                                                    // 0000000054C4: BF800001
	v_permlane16_swap_b32_e32 v17, v19                         // 0000000054C8: 7E22B313
	s_nop 1                                                    // 0000000054CC: BF800001
	buffer_store_dwordx4 v[16:19], v167, s[4:7], 0 offen       // 0000000054D0: E07C1000 800110A7
	v_add_u32_e32 v167, s62, v167                              // 0000000054D8: 694F4E3E
	v_accvgpr_read_b32 v8, a20                                 // 0000000054DC: D3D84008 18000114
	v_accvgpr_read_b32 v9, a21                                 // 0000000054E4: D3D84009 18000115
	v_accvgpr_read_b32 v10, a22                                // 0000000054EC: D3D8400A 18000116
	v_accvgpr_read_b32 v11, a23                                // 0000000054F4: D3D8400B 18000117
	v_accvgpr_read_b32 v12, a28                                // 0000000054FC: D3D8400C 1800011C
	v_accvgpr_read_b32 v13, a29                                // 000000005504: D3D8400D 1800011D
	v_accvgpr_read_b32 v14, a30                                // 00000000550C: D3D8400E 1800011E
	v_accvgpr_read_b32 v15, a31                                // 000000005514: D3D8400F 1800011F
	v_cvt_pk_bf16_f32 v16, v8, v9                              // 00000000551C: D2680010 00021308
	v_cvt_pk_bf16_f32 v17, v10, v11                            // 000000005524: D2680011 0002170A
	v_cvt_pk_bf16_f32 v18, v12, v13                            // 00000000552C: D2680012 00021B0C
	v_cvt_pk_bf16_f32 v19, v14, v15                            // 000000005534: D2680013 00021F0E
	s_nop 1                                                    // 00000000553C: BF800001
	v_permlane16_swap_b32_e32 v16, v18                         // 000000005540: 7E20B312
	s_nop 1                                                    // 000000005544: BF800001
	v_permlane16_swap_b32_e32 v17, v19                         // 000000005548: 7E22B313
	s_nop 1                                                    // 00000000554C: BF800001
	buffer_store_dwordx4 v[16:19], v167, s[4:7], 0 offen       // 000000005550: E07C1000 800110A7
	v_add_u32_e32 v167, s62, v167                              // 000000005558: 694F4E3E
	s_cmp_lt_i32 s60, s44                                      // 00000000555C: BF042C3C
	s_cbranch_scc0 label_0AE1                                  // 000000005560: BF840088
	s_addk_i32 s60, 0x20                                       // 000000005564: B73C0020
	v_add_u32_e32 v167, 0x80, v163                             // 000000005568: 694F46FF 00000080
	v_accvgpr_read_b32 v8, a32                                 // 000000005570: D3D84008 18000120
	v_accvgpr_read_b32 v9, a33                                 // 000000005578: D3D84009 18000121
	v_accvgpr_read_b32 v10, a34                                // 000000005580: D3D8400A 18000122
	v_accvgpr_read_b32 v11, a35                                // 000000005588: D3D8400B 18000123
	v_accvgpr_read_b32 v12, a40                                // 000000005590: D3D8400C 18000128
	v_accvgpr_read_b32 v13, a41                                // 000000005598: D3D8400D 18000129
	v_accvgpr_read_b32 v14, a42                                // 0000000055A0: D3D8400E 1800012A
	v_accvgpr_read_b32 v15, a43                                // 0000000055A8: D3D8400F 1800012B
	v_cvt_pk_bf16_f32 v16, v8, v9                              // 0000000055B0: D2680010 00021308
	v_cvt_pk_bf16_f32 v17, v10, v11                            // 0000000055B8: D2680011 0002170A
	v_cvt_pk_bf16_f32 v18, v12, v13                            // 0000000055C0: D2680012 00021B0C
	v_cvt_pk_bf16_f32 v19, v14, v15                            // 0000000055C8: D2680013 00021F0E
	s_nop 1                                                    // 0000000055D0: BF800001
	v_permlane16_swap_b32_e32 v16, v18                         // 0000000055D4: 7E20B312
	s_nop 1                                                    // 0000000055D8: BF800001
	v_permlane16_swap_b32_e32 v17, v19                         // 0000000055DC: 7E22B313
	s_nop 1                                                    // 0000000055E0: BF800001
	buffer_store_dwordx4 v[16:19], v167, s[4:7], 0 offen       // 0000000055E4: E07C1000 800110A7
	v_add_u32_e32 v167, s62, v167                              // 0000000055EC: 694F4E3E
	v_accvgpr_read_b32 v8, a36                                 // 0000000055F0: D3D84008 18000124
	v_accvgpr_read_b32 v9, a37                                 // 0000000055F8: D3D84009 18000125
	v_accvgpr_read_b32 v10, a38                                // 000000005600: D3D8400A 18000126
	v_accvgpr_read_b32 v11, a39                                // 000000005608: D3D8400B 18000127
	v_accvgpr_read_b32 v12, a44                                // 000000005610: D3D8400C 1800012C
	v_accvgpr_read_b32 v13, a45                                // 000000005618: D3D8400D 1800012D
	v_accvgpr_read_b32 v14, a46                                // 000000005620: D3D8400E 1800012E
	v_accvgpr_read_b32 v15, a47                                // 000000005628: D3D8400F 1800012F
	v_cvt_pk_bf16_f32 v16, v8, v9                              // 000000005630: D2680010 00021308
	v_cvt_pk_bf16_f32 v17, v10, v11                            // 000000005638: D2680011 0002170A
	v_cvt_pk_bf16_f32 v18, v12, v13                            // 000000005640: D2680012 00021B0C
	v_cvt_pk_bf16_f32 v19, v14, v15                            // 000000005648: D2680013 00021F0E
	s_nop 1                                                    // 000000005650: BF800001
	v_permlane16_swap_b32_e32 v16, v18                         // 000000005654: 7E20B312
	s_nop 1                                                    // 000000005658: BF800001
	v_permlane16_swap_b32_e32 v17, v19                         // 00000000565C: 7E22B313
	s_nop 1                                                    // 000000005660: BF800001
	buffer_store_dwordx4 v[16:19], v167, s[4:7], 0 offen       // 000000005664: E07C1000 800110A7
	v_add_u32_e32 v167, s62, v167                              // 00000000566C: 694F4E3E
	s_cmp_lt_i32 s60, s44                                      // 000000005670: BF042C3C
	s_cbranch_scc0 label_0AE1                                  // 000000005674: BF840043
	s_addk_i32 s60, 0x20                                       // 000000005678: B73C0020
	v_add_u32_e32 v167, 0xc0, v163                             // 00000000567C: 694F46FF 000000C0
	v_accvgpr_read_b32 v8, a48                                 // 000000005684: D3D84008 18000130
	v_accvgpr_read_b32 v9, a49                                 // 00000000568C: D3D84009 18000131
	v_accvgpr_read_b32 v10, a50                                // 000000005694: D3D8400A 18000132
	v_accvgpr_read_b32 v11, a51                                // 00000000569C: D3D8400B 18000133
	v_accvgpr_read_b32 v12, a56                                // 0000000056A4: D3D8400C 18000138
	v_accvgpr_read_b32 v13, a57                                // 0000000056AC: D3D8400D 18000139
	v_accvgpr_read_b32 v14, a58                                // 0000000056B4: D3D8400E 1800013A
	v_accvgpr_read_b32 v15, a59                                // 0000000056BC: D3D8400F 1800013B
	v_cvt_pk_bf16_f32 v16, v8, v9                              // 0000000056C4: D2680010 00021308
	v_cvt_pk_bf16_f32 v17, v10, v11                            // 0000000056CC: D2680011 0002170A
	v_cvt_pk_bf16_f32 v18, v12, v13                            // 0000000056D4: D2680012 00021B0C
	v_cvt_pk_bf16_f32 v19, v14, v15                            // 0000000056DC: D2680013 00021F0E
	s_nop 1                                                    // 0000000056E4: BF800001
	v_permlane16_swap_b32_e32 v16, v18                         // 0000000056E8: 7E20B312
	s_nop 1                                                    // 0000000056EC: BF800001
	v_permlane16_swap_b32_e32 v17, v19                         // 0000000056F0: 7E22B313
	s_nop 1                                                    // 0000000056F4: BF800001
	buffer_store_dwordx4 v[16:19], v167, s[4:7], 0 offen       // 0000000056F8: E07C1000 800110A7
	v_add_u32_e32 v167, s62, v167                              // 000000005700: 694F4E3E
	v_accvgpr_read_b32 v8, a52                                 // 000000005704: D3D84008 18000134
	v_accvgpr_read_b32 v9, a53                                 // 00000000570C: D3D84009 18000135
	v_accvgpr_read_b32 v10, a54                                // 000000005714: D3D8400A 18000136
	v_accvgpr_read_b32 v11, a55                                // 00000000571C: D3D8400B 18000137
	v_accvgpr_read_b32 v12, a60                                // 000000005724: D3D8400C 1800013C
	v_accvgpr_read_b32 v13, a61                                // 00000000572C: D3D8400D 1800013D
	v_accvgpr_read_b32 v14, a62                                // 000000005734: D3D8400E 1800013E
	v_accvgpr_read_b32 v15, a63                                // 00000000573C: D3D8400F 1800013F
	v_cvt_pk_bf16_f32 v16, v8, v9                              // 000000005744: D2680010 00021308
	v_cvt_pk_bf16_f32 v17, v10, v11                            // 00000000574C: D2680011 0002170A
	v_cvt_pk_bf16_f32 v18, v12, v13                            // 000000005754: D2680012 00021B0C
	v_cvt_pk_bf16_f32 v19, v14, v15                            // 00000000575C: D2680013 00021F0E
	s_nop 1                                                    // 000000005764: BF800001
	v_permlane16_swap_b32_e32 v16, v18                         // 000000005768: 7E20B312
	s_nop 1                                                    // 00000000576C: BF800001
	v_permlane16_swap_b32_e32 v17, v19                         // 000000005770: 7E22B313
	s_nop 1                                                    // 000000005774: BF800001
	buffer_store_dwordx4 v[16:19], v167, s[4:7], 0 offen       // 000000005778: E07C1000 800110A7
	v_add_u32_e32 v167, s62, v167                              // 000000005780: 694F4E3E

0000000000005784 <label_0AE1>:
	s_waitcnt vmcnt(0) expcnt(0) lgkmcnt(0)                    // 000000005784: BF8C0000
	s_endpgm                                                   // 000000005788: BF810000
